;; amdgpu-corpus repo=ROCm/rocFFT kind=compiled arch=gfx906 opt=O3
	.text
	.amdgcn_target "amdgcn-amd-amdhsa--gfx906"
	.amdhsa_code_object_version 6
	.protected	bluestein_single_back_len68_dim1_sp_op_CI_CI ; -- Begin function bluestein_single_back_len68_dim1_sp_op_CI_CI
	.globl	bluestein_single_back_len68_dim1_sp_op_CI_CI
	.p2align	8
	.type	bluestein_single_back_len68_dim1_sp_op_CI_CI,@function
bluestein_single_back_len68_dim1_sp_op_CI_CI: ; @bluestein_single_back_len68_dim1_sp_op_CI_CI
; %bb.0:
	v_mul_u32_u24_e32 v1, 0xf10, v0
	s_load_dwordx4 s[0:3], s[4:5], 0x28
	v_lshrrev_b32_e32 v1, 16, v1
	v_mad_u64_u32 v[36:37], s[6:7], s6, 15, v[1:2]
	v_mov_b32_e32 v37, 0
	s_waitcnt lgkmcnt(0)
	v_cmp_gt_u64_e32 vcc, s[0:1], v[36:37]
	s_and_saveexec_b64 s[0:1], vcc
	s_cbranch_execz .LBB0_15
; %bb.1:
	s_mov_b32 s0, 0x88888889
	v_mul_hi_u32 v2, v36, s0
	s_load_dwordx2 s[6:7], s[4:5], 0x0
	s_load_dwordx2 s[12:13], s[4:5], 0x38
	v_mul_lo_u16_e32 v1, 17, v1
	v_sub_u16_e32 v78, v0, v1
	v_lshrrev_b32_e32 v2, 3, v2
	v_mul_lo_u32 v2, v2, 15
	v_cmp_gt_u16_e32 vcc, 4, v78
	v_lshlrev_b32_e32 v62, 3, v78
	v_or_b32_e32 v77, 4, v78
	v_sub_u32_e32 v0, v36, v2
	v_mul_u32_u24_e32 v81, 0x44, v0
	v_or_b32_e32 v0, v81, v78
	v_lshlrev_b32_e32 v79, 3, v0
	v_or_b32_e32 v76, 8, v78
	v_or_b32_e32 v75, 12, v78
	;; [unrolled: 1-line block ×15, first 2 shown]
	s_and_saveexec_b64 s[14:15], vcc
	s_cbranch_execz .LBB0_3
; %bb.2:
	s_load_dwordx2 s[0:1], s[4:5], 0x18
	v_mov_b32_e32 v8, s3
	s_waitcnt lgkmcnt(0)
	s_load_dwordx4 s[8:11], s[0:1], 0x0
	s_waitcnt lgkmcnt(0)
	v_mad_u64_u32 v[0:1], s[0:1], s10, v36, 0
	v_mad_u64_u32 v[2:3], s[0:1], s8, v78, 0
	;; [unrolled: 1-line block ×5, first 2 shown]
	v_mov_b32_e32 v1, v4
	v_lshlrev_b64 v[0:1], 3, v[0:1]
	v_mov_b32_e32 v3, v5
	v_add_co_u32_e64 v80, s[0:1], s2, v0
	v_mov_b32_e32 v0, v7
	v_addc_co_u32_e64 v93, s[0:1], v8, v1, s[0:1]
	v_mad_u64_u32 v[0:1], s[0:1], s9, v77, v[0:1]
	v_mad_u64_u32 v[4:5], s[0:1], s8, v76, 0
	v_lshlrev_b64 v[2:3], 3, v[2:3]
	v_mov_b32_e32 v7, v0
	v_add_co_u32_e64 v1, s[0:1], v80, v2
	v_mov_b32_e32 v0, v5
	v_addc_co_u32_e64 v2, s[0:1], v93, v3, s[0:1]
	v_mad_u64_u32 v[8:9], s[0:1], s9, v76, v[0:1]
	v_mad_u64_u32 v[9:10], s[0:1], s8, v75, 0
	v_lshlrev_b64 v[6:7], 3, v[6:7]
	v_mov_b32_e32 v5, v8
	v_add_co_u32_e64 v6, s[0:1], v80, v6
	v_mov_b32_e32 v0, v10
	v_addc_co_u32_e64 v7, s[0:1], v93, v7, s[0:1]
	v_mad_u64_u32 v[10:11], s[0:1], s9, v75, v[0:1]
	v_lshlrev_b64 v[3:4], 3, v[4:5]
	v_add_co_u32_e64 v3, s[0:1], v80, v3
	v_lshlrev_b64 v[8:9], 3, v[9:10]
	v_addc_co_u32_e64 v4, s[0:1], v93, v4, s[0:1]
	v_add_co_u32_e64 v8, s[0:1], v80, v8
	v_addc_co_u32_e64 v9, s[0:1], v93, v9, s[0:1]
	global_load_dwordx2 v[12:13], v[1:2], off
	global_load_dwordx2 v[14:15], v[6:7], off
	;; [unrolled: 1-line block ×4, first 2 shown]
	v_mad_u64_u32 v[10:11], s[0:1], s8, v74, 0
	v_mad_u64_u32 v[0:1], s[0:1], s8, v73, 0
	v_mov_b32_e32 v2, v11
	v_mad_u64_u32 v[2:3], s[0:1], s9, v74, v[2:3]
	v_mad_u64_u32 v[3:4], s[0:1], s9, v73, v[1:2]
	v_mov_b32_e32 v11, v2
	global_load_dwordx2 v[4:5], v62, s[6:7]
	global_load_dwordx2 v[6:7], v62, s[6:7] offset:32
	global_load_dwordx2 v[8:9], v62, s[6:7] offset:64
	;; [unrolled: 1-line block ×3, first 2 shown]
	v_mov_b32_e32 v1, v3
	v_lshlrev_b64 v[2:3], 3, v[10:11]
	v_mad_u64_u32 v[10:11], s[0:1], s8, v72, 0
	v_add_co_u32_e64 v2, s[0:1], v80, v2
	v_addc_co_u32_e64 v3, s[0:1], v93, v3, s[0:1]
	v_lshlrev_b64 v[0:1], 3, v[0:1]
	s_waitcnt vmcnt(7)
	v_mad_u64_u32 v[22:23], s[0:1], s9, v72, v[11:12]
	v_mad_u64_u32 v[23:24], s[0:1], s8, v71, 0
	v_add_co_u32_e64 v0, s[0:1], v80, v0
	v_mov_b32_e32 v11, v22
	v_mov_b32_e32 v22, v24
	v_addc_co_u32_e64 v1, s[0:1], v93, v1, s[0:1]
	v_mad_u64_u32 v[24:25], s[0:1], s9, v71, v[22:23]
	v_lshlrev_b64 v[10:11], 3, v[10:11]
	v_add_co_u32_e64 v10, s[0:1], v80, v10
	v_lshlrev_b64 v[22:23], 3, v[23:24]
	v_addc_co_u32_e64 v11, s[0:1], v93, v11, s[0:1]
	v_add_co_u32_e64 v22, s[0:1], v80, v22
	v_addc_co_u32_e64 v23, s[0:1], v93, v23, s[0:1]
	v_mad_u64_u32 v[24:25], s[0:1], s8, v70, 0
	global_load_dwordx2 v[26:27], v[2:3], off
	global_load_dwordx2 v[28:29], v[0:1], off
	;; [unrolled: 1-line block ×4, first 2 shown]
	v_mad_u64_u32 v[39:40], s[0:1], s8, v68, 0
	v_mov_b32_e32 v0, v25
	v_mad_u64_u32 v[0:1], s[0:1], s9, v70, v[0:1]
	v_mad_u64_u32 v[1:2], s[0:1], s8, v69, 0
	v_mov_b32_e32 v25, v0
	v_lshlrev_b64 v[24:25], 3, v[24:25]
	v_mov_b32_e32 v0, v2
	v_mad_u64_u32 v[2:3], s[0:1], s9, v69, v[0:1]
	v_add_co_u32_e64 v24, s[0:1], v80, v24
	v_lshlrev_b64 v[0:1], 3, v[1:2]
	v_mov_b32_e32 v2, v40
	v_addc_co_u32_e64 v25, s[0:1], v93, v25, s[0:1]
	v_mad_u64_u32 v[2:3], s[0:1], s9, v68, v[2:3]
	v_mad_u64_u32 v[41:42], s[0:1], s8, v67, 0
	v_mov_b32_e32 v40, v2
	v_add_co_u32_e64 v0, s[0:1], v80, v0
	v_lshlrev_b64 v[2:3], 3, v[39:40]
	v_mov_b32_e32 v39, v42
	v_addc_co_u32_e64 v1, s[0:1], v93, v1, s[0:1]
	v_mad_u64_u32 v[39:40], s[0:1], s9, v67, v[39:40]
	v_add_co_u32_e64 v2, s[0:1], v80, v2
	v_mov_b32_e32 v42, v39
	v_lshlrev_b64 v[39:40], 3, v[41:42]
	v_addc_co_u32_e64 v3, s[0:1], v93, v3, s[0:1]
	v_add_co_u32_e64 v39, s[0:1], v80, v39
	global_load_dwordx2 v[10:11], v62, s[6:7] offset:128
	global_load_dwordx2 v[22:23], v62, s[6:7] offset:160
	;; [unrolled: 1-line block ×4, first 2 shown]
	v_addc_co_u32_e64 v40, s[0:1], v93, v40, s[0:1]
	global_load_dwordx2 v[43:44], v[24:25], off
	global_load_dwordx2 v[45:46], v[0:1], off
	;; [unrolled: 1-line block ×4, first 2 shown]
	v_mad_u64_u32 v[41:42], s[0:1], s8, v66, 0
	v_mad_u64_u32 v[55:56], s[0:1], s8, v64, 0
	v_mov_b32_e32 v0, v42
	v_mad_u64_u32 v[0:1], s[0:1], s9, v66, v[0:1]
	v_mad_u64_u32 v[1:2], s[0:1], s8, v65, 0
	v_mov_b32_e32 v42, v0
	v_lshlrev_b64 v[41:42], 3, v[41:42]
	v_mov_b32_e32 v0, v2
	v_mad_u64_u32 v[2:3], s[0:1], s9, v65, v[0:1]
	v_add_co_u32_e64 v41, s[0:1], v80, v41
	v_lshlrev_b64 v[0:1], 3, v[1:2]
	v_mov_b32_e32 v2, v56
	v_addc_co_u32_e64 v42, s[0:1], v93, v42, s[0:1]
	v_mad_u64_u32 v[2:3], s[0:1], s9, v64, v[2:3]
	v_mad_u64_u32 v[57:58], s[0:1], s8, v63, 0
	v_mov_b32_e32 v56, v2
	v_add_co_u32_e64 v0, s[0:1], v80, v0
	v_lshlrev_b64 v[2:3], 3, v[55:56]
	v_mov_b32_e32 v55, v58
	v_addc_co_u32_e64 v1, s[0:1], v93, v1, s[0:1]
	v_mad_u64_u32 v[55:56], s[0:1], s9, v63, v[55:56]
	v_add_co_u32_e64 v2, s[0:1], v80, v2
	v_mov_b32_e32 v58, v55
	global_load_dwordx2 v[24:25], v62, s[6:7] offset:256
	global_load_dwordx2 v[39:40], v62, s[6:7] offset:288
	;; [unrolled: 1-line block ×4, first 2 shown]
	v_addc_co_u32_e64 v3, s[0:1], v93, v3, s[0:1]
	v_lshlrev_b64 v[55:56], 3, v[57:58]
	global_load_dwordx2 v[57:58], v[41:42], off
	global_load_dwordx2 v[59:60], v62, s[6:7] offset:384
	v_mad_u64_u32 v[41:42], s[0:1], s8, v61, 0
	v_add_co_u32_e64 v55, s[0:1], v80, v55
	v_addc_co_u32_e64 v56, s[0:1], v93, v56, s[0:1]
	global_load_dwordx2 v[82:83], v62, s[6:7] offset:416
	s_nop 0
	global_load_dwordx2 v[0:1], v[0:1], off
	s_waitcnt vmcnt(11)
	v_mad_u64_u32 v[84:85], s[0:1], s9, v61, v[42:43]
	global_load_dwordx2 v[85:86], v[2:3], off
	global_load_dwordx2 v[87:88], v[55:56], off
	global_load_dwordx2 v[89:90], v62, s[6:7] offset:448
	global_load_dwordx2 v[91:92], v62, s[6:7] offset:480
	v_mov_b32_e32 v42, v84
	v_lshlrev_b64 v[2:3], 3, v[41:42]
	v_add_co_u32_e64 v2, s[0:1], v80, v2
	v_addc_co_u32_e64 v3, s[0:1], v93, v3, s[0:1]
	global_load_dwordx2 v[41:42], v[2:3], off
	global_load_dwordx2 v[55:56], v62, s[6:7] offset:512
	v_mul_f32_e32 v2, v12, v5
	v_fma_f32 v3, v13, v4, -v2
	v_mul_f32_e32 v2, v13, v5
	v_fmac_f32_e32 v2, v12, v4
	v_mul_f32_e32 v4, v14, v7
	v_fma_f32 v5, v15, v6, -v4
	v_mul_f32_e32 v4, v15, v7
	v_fmac_f32_e32 v4, v14, v6
	;; [unrolled: 4-line block ×3, first 2 shown]
	v_mul_f32_e32 v8, v18, v21
	ds_write_b64 v79, v[2:3]
	v_mul_f32_e32 v2, v26, v11
	v_fma_f32 v9, v19, v20, -v8
	v_mul_f32_e32 v8, v19, v21
	v_fma_f32 v3, v27, v10, -v2
	v_mul_f32_e32 v2, v27, v11
	v_fmac_f32_e32 v8, v18, v20
	v_lshl_add_u32 v12, v81, 3, v62
	v_fmac_f32_e32 v2, v26, v10
	ds_write2_b64 v12, v[4:5], v[6:7] offset0:4 offset1:8
	ds_write2_b64 v12, v[8:9], v[2:3] offset0:12 offset1:16
	v_mul_f32_e32 v2, v28, v23
	v_mul_f32_e32 v4, v30, v35
	v_fma_f32 v3, v29, v22, -v2
	v_mul_f32_e32 v2, v29, v23
	v_fma_f32 v5, v31, v34, -v4
	v_mul_f32_e32 v4, v31, v35
	v_fmac_f32_e32 v2, v28, v22
	v_fmac_f32_e32 v4, v30, v34
	ds_write2_b64 v12, v[2:3], v[4:5] offset0:20 offset1:24
	v_mul_f32_e32 v2, v32, v38
	s_waitcnt vmcnt(13)
	v_mul_f32_e32 v4, v43, v25
	v_fma_f32 v3, v33, v37, -v2
	v_mul_f32_e32 v2, v33, v38
	v_fma_f32 v5, v44, v24, -v4
	v_mul_f32_e32 v4, v44, v25
	v_fmac_f32_e32 v2, v32, v37
	v_fmac_f32_e32 v4, v43, v24
	ds_write2_b64 v12, v[2:3], v[4:5] offset0:28 offset1:32
	s_waitcnt vmcnt(12)
	v_mul_f32_e32 v2, v45, v40
	s_waitcnt vmcnt(11)
	v_mul_f32_e32 v4, v47, v52
	v_fma_f32 v3, v46, v39, -v2
	v_mul_f32_e32 v2, v46, v40
	v_fma_f32 v5, v48, v51, -v4
	v_mul_f32_e32 v4, v48, v52
	v_fmac_f32_e32 v2, v45, v39
	v_fmac_f32_e32 v4, v47, v51
	ds_write2_b64 v12, v[2:3], v[4:5] offset0:36 offset1:40
	s_waitcnt vmcnt(10)
	;; [unrolled: 11-line block ×3, first 2 shown]
	v_mul_f32_e32 v2, v0, v83
	v_fma_f32 v2, v1, v82, -v2
	v_mul_f32_e32 v1, v1, v83
	v_fmac_f32_e32 v1, v0, v82
	s_waitcnt vmcnt(3)
	v_mul_f32_e32 v0, v85, v90
	v_mul_f32_e32 v3, v86, v90
	v_fma_f32 v4, v86, v89, -v0
	v_fmac_f32_e32 v3, v85, v89
	ds_write2_b64 v12, v[1:2], v[3:4] offset0:52 offset1:56
	s_waitcnt vmcnt(2)
	v_mul_f32_e32 v0, v87, v92
	v_fma_f32 v1, v88, v91, -v0
	v_mul_f32_e32 v0, v88, v92
	v_fmac_f32_e32 v0, v87, v91
	s_waitcnt vmcnt(0)
	v_mul_f32_e32 v2, v41, v56
	v_fma_f32 v3, v42, v55, -v2
	v_mul_f32_e32 v2, v42, v56
	v_fmac_f32_e32 v2, v41, v55
	ds_write2_b64 v12, v[0:1], v[2:3] offset0:60 offset1:64
.LBB0_3:
	s_or_b64 exec, exec, s[14:15]
	s_load_dwordx2 s[0:1], s[4:5], 0x20
	s_load_dwordx2 s[8:9], s[4:5], 0x8
	v_mov_b32_e32 v45, 0
	v_mov_b32_e32 v46, 0
	v_lshlrev_b32_e32 v80, 3, v81
	s_waitcnt lgkmcnt(0)
	s_barrier
	s_waitcnt lgkmcnt(0)
                                        ; implicit-def: $vgpr7
                                        ; implicit-def: $vgpr9
                                        ; implicit-def: $vgpr35
                                        ; implicit-def: $vgpr31
                                        ; implicit-def: $vgpr27
                                        ; implicit-def: $vgpr23
                                        ; implicit-def: $vgpr18
                                        ; implicit-def: $vgpr14
	s_and_saveexec_b64 s[2:3], vcc
	s_cbranch_execz .LBB0_5
; %bb.4:
	v_lshl_add_u32 v0, v78, 3, v80
	ds_read_b64 v[45:46], v79
	ds_read2_b64 v[12:15], v0 offset0:4 offset1:8
	ds_read2_b64 v[16:19], v0 offset0:12 offset1:16
	;; [unrolled: 1-line block ×8, first 2 shown]
.LBB0_5:
	s_or_b64 exec, exec, s[2:3]
	s_waitcnt lgkmcnt(0)
	v_sub_f32_e32 v58, v13, v35
	v_mul_f32_e32 v83, 0xbeb8f4ab, v58
	v_sub_f32_e32 v60, v15, v33
	v_add_f32_e32 v87, v34, v12
	v_sub_f32_e32 v57, v12, v34
	v_mov_b32_e32 v0, v83
	v_mul_f32_e32 v85, 0xbf2c7751, v60
	v_add_f32_e32 v88, v35, v13
	s_mov_b32 s2, 0x3f6eb680
	v_mul_f32_e32 v84, 0xbeb8f4ab, v57
	v_fmac_f32_e32 v0, 0x3f6eb680, v87
	v_add_f32_e32 v91, v32, v14
	v_sub_f32_e32 v59, v14, v32
	v_mov_b32_e32 v2, v85
	v_add_f32_e32 v0, v0, v45
	v_fma_f32 v1, v88, s2, -v84
	s_mov_b32 s3, 0x3f3d2fb0
	v_add_f32_e32 v92, v33, v15
	v_mul_f32_e32 v86, 0xbf2c7751, v59
	v_fmac_f32_e32 v2, 0x3f3d2fb0, v91
	v_sub_f32_e32 v101, v17, v31
	v_add_f32_e32 v1, v1, v46
	v_add_f32_e32 v0, v2, v0
	v_fma_f32 v2, v92, s3, -v86
	v_mul_f32_e32 v89, 0xbf65296c, v101
	v_add_f32_e32 v1, v2, v1
	v_add_f32_e32 v95, v30, v16
	v_sub_f32_e32 v82, v16, v30
	v_mov_b32_e32 v2, v89
	s_mov_b32 s4, 0x3ee437d1
	v_add_f32_e32 v96, v31, v17
	v_mul_f32_e32 v90, 0xbf65296c, v82
	v_fmac_f32_e32 v2, 0x3ee437d1, v95
	v_sub_f32_e32 v106, v19, v29
	v_add_f32_e32 v0, v2, v0
	v_fma_f32 v2, v96, s4, -v90
	v_mul_f32_e32 v93, 0xbf7ee86f, v106
	v_add_f32_e32 v1, v2, v1
	v_add_f32_e32 v98, v28, v18
	v_mov_b32_e32 v2, v93
	v_sub_f32_e32 v107, v18, v28
	s_mov_b32 s5, 0x3dbcf732
	v_add_f32_e32 v99, v29, v19
	v_fmac_f32_e32 v2, 0x3dbcf732, v98
	v_mul_f32_e32 v94, 0xbf7ee86f, v107
	v_sub_f32_e32 v112, v5, v27
	v_add_f32_e32 v0, v2, v0
	v_fma_f32 v2, v99, s5, -v94
	v_mul_f32_e32 v97, 0xbf763a35, v112
	v_add_f32_e32 v1, v2, v1
	v_add_f32_e32 v103, v26, v4
	v_mov_b32_e32 v2, v97
	v_sub_f32_e32 v113, v4, v26
	v_fmac_f32_e32 v2, 0xbe8c1d8e, v103
	s_mov_b32 s10, 0xbe8c1d8e
	v_add_f32_e32 v105, v27, v5
	v_mul_f32_e32 v100, 0xbf763a35, v113
	v_add_f32_e32 v117, v6, v24
	v_add_f32_e32 v0, v2, v0
	v_fma_f32 v2, v105, s10, -v100
	v_mul_f32_e32 v102, 0xbf1a4643, v117
	v_add_f32_e32 v1, v2, v1
	v_sub_f32_e32 v109, v7, v25
	v_mov_b32_e32 v2, v102
	v_sub_f32_e32 v119, v6, v24
	v_fmac_f32_e32 v2, 0xbf4c4adb, v109
	s_mov_b32 s11, 0xbf1a4643
	v_add_f32_e32 v110, v7, v25
	v_mul_f32_e32 v104, 0xbf4c4adb, v119
	v_add_f32_e32 v136, v8, v22
	v_add_f32_e32 v0, v2, v0
	v_fma_f32 v2, v110, s11, -v104
	v_mul_f32_e32 v108, 0xbf59a7d5, v136
	v_add_f32_e32 v1, v2, v1
	v_sub_f32_e32 v115, v9, v23
	;; [unrolled: 12-line block ×3, first 2 shown]
	v_mov_b32_e32 v2, v114
	v_sub_f32_e32 v155, v10, v20
	s_mov_b32 s15, 0xbf7ba420
	v_fmac_f32_e32 v2, 0xbe3c28d5, v132
	v_add_f32_e32 v134, v11, v21
	v_mul_f32_e32 v118, 0xbe3c28d5, v155
	v_mul_f32_e32 v120, 0xbf2c7751, v58
	v_fma_f32 v3, v134, s15, -v118
	v_add_f32_e32 v2, v2, v0
	v_mov_b32_e32 v0, v120
	v_mul_f32_e32 v121, 0xbf7ee86f, v60
	v_add_f32_e32 v3, v3, v1
	v_fmac_f32_e32 v0, 0x3f3d2fb0, v87
	v_mov_b32_e32 v1, v121
	v_add_f32_e32 v0, v0, v45
	v_fmac_f32_e32 v1, 0x3dbcf732, v91
	v_mul_f32_e32 v125, 0xbf2c7751, v57
	v_add_f32_e32 v0, v1, v0
	v_fma_f32 v1, v88, s3, -v125
	v_mul_f32_e32 v126, 0xbf7ee86f, v59
	v_add_f32_e32 v1, v1, v46
	v_fma_f32 v37, v92, s5, -v126
	v_mul_f32_e32 v122, 0xbf4c4adb, v101
	v_add_f32_e32 v1, v37, v1
	v_mov_b32_e32 v37, v122
	v_fmac_f32_e32 v37, 0xbf1a4643, v95
	v_mul_f32_e32 v128, 0xbf4c4adb, v82
	v_add_f32_e32 v0, v37, v0
	v_fma_f32 v37, v96, s11, -v128
	v_mul_f32_e32 v123, 0xbe3c28d5, v106
	v_add_f32_e32 v1, v37, v1
	v_mov_b32_e32 v37, v123
	v_fmac_f32_e32 v37, 0xbf7ba420, v98
	v_mul_f32_e32 v130, 0xbe3c28d5, v107
	v_add_f32_e32 v0, v37, v0
	v_fma_f32 v37, v99, s15, -v130
	v_mul_f32_e32 v124, 0x3f06c442, v112
	v_add_f32_e32 v1, v37, v1
	v_mov_b32_e32 v37, v124
	v_fmac_f32_e32 v37, 0xbf59a7d5, v103
	v_mul_f32_e32 v133, 0x3f06c442, v113
	v_add_f32_e32 v0, v37, v0
	v_fma_f32 v37, v105, s14, -v133
	v_mul_f32_e32 v127, 0xbe8c1d8e, v117
	v_add_f32_e32 v1, v37, v1
	v_mov_b32_e32 v37, v127
	v_fmac_f32_e32 v37, 0x3f763a35, v109
	v_mul_f32_e32 v135, 0x3f763a35, v119
	v_add_f32_e32 v0, v37, v0
	v_fma_f32 v37, v110, s10, -v135
	v_mul_f32_e32 v129, 0x3ee437d1, v136
	v_add_f32_e32 v1, v37, v1
	v_mov_b32_e32 v37, v129
	v_fmac_f32_e32 v37, 0x3f65296c, v115
	v_mul_f32_e32 v137, 0x3f65296c, v138
	v_add_f32_e32 v0, v37, v0
	v_fma_f32 v37, v116, s4, -v137
	v_mul_f32_e32 v131, 0x3f6eb680, v153
	v_add_f32_e32 v1, v37, v1
	v_mov_b32_e32 v37, v131
	v_fmac_f32_e32 v37, 0x3eb8f4ab, v132
	v_mul_f32_e32 v139, 0x3eb8f4ab, v155
	v_add_f32_e32 v0, v37, v0
	v_fma_f32 v37, v134, s2, -v139
	v_mul_f32_e32 v140, 0xbf65296c, v58
	v_add_f32_e32 v1, v37, v1
	v_mov_b32_e32 v37, v140
	v_mul_f32_e32 v141, 0xbf4c4adb, v60
	v_fmac_f32_e32 v37, 0x3ee437d1, v87
	v_mov_b32_e32 v38, v141
	v_add_f32_e32 v37, v37, v45
	v_fmac_f32_e32 v38, 0xbf1a4643, v91
	v_mul_f32_e32 v145, 0xbf65296c, v57
	v_add_f32_e32 v37, v38, v37
	v_fma_f32 v38, v88, s4, -v145
	v_mul_f32_e32 v146, 0xbf4c4adb, v59
	v_add_f32_e32 v38, v38, v46
	v_fma_f32 v39, v92, s11, -v146
	v_mul_f32_e32 v142, 0x3e3c28d5, v101
	v_add_f32_e32 v38, v39, v38
	v_mov_b32_e32 v39, v142
	v_fmac_f32_e32 v39, 0xbf7ba420, v95
	v_mul_f32_e32 v148, 0x3e3c28d5, v82
	v_add_f32_e32 v37, v39, v37
	v_fma_f32 v39, v96, s15, -v148
	v_mul_f32_e32 v143, 0x3f763a35, v106
	v_add_f32_e32 v38, v39, v38
	v_mov_b32_e32 v39, v143
	v_fmac_f32_e32 v39, 0xbe8c1d8e, v98
	;; [unrolled: 7-line block ×6, first 2 shown]
	v_mul_f32_e32 v157, 0xbf06c442, v155
	v_add_f32_e32 v37, v39, v37
	v_fma_f32 v39, v134, s14, -v157
	v_mul_f32_e32 v41, 0xbf7ee86f, v58
	v_add_f32_e32 v38, v39, v38
	v_fma_f32 v39, v87, s5, -v41
	;; [unrolled: 3-line block ×3, first 2 shown]
	v_mul_f32_e32 v43, 0xbf7ee86f, v57
	v_add_f32_e32 v39, v40, v39
	v_mov_b32_e32 v40, v43
	v_mul_f32_e32 v44, 0xbe3c28d5, v59
	v_fmac_f32_e32 v40, 0x3dbcf732, v88
	v_mov_b32_e32 v47, v44
	v_add_f32_e32 v40, v40, v46
	v_fmac_f32_e32 v47, 0xbf7ba420, v92
	v_add_f32_e32 v40, v47, v40
	v_mul_f32_e32 v47, 0x3f763a35, v101
	v_fma_f32 v48, v95, s10, -v47
	v_add_f32_e32 v39, v48, v39
	v_mul_f32_e32 v48, 0x3f763a35, v82
	v_mov_b32_e32 v49, v48
	v_fmac_f32_e32 v49, 0xbe8c1d8e, v96
	v_add_f32_e32 v40, v49, v40
	v_mul_f32_e32 v49, 0x3eb8f4ab, v106
	v_fma_f32 v50, v98, s2, -v49
	v_add_f32_e32 v39, v50, v39
	v_mul_f32_e32 v50, 0x3eb8f4ab, v107
	v_mov_b32_e32 v51, v50
	;; [unrolled: 7-line block ×3, first 2 shown]
	v_fmac_f32_e32 v53, 0x3ee437d1, v105
	v_add_f32_e32 v40, v53, v40
	v_mul_f32_e32 v53, 0xbf59a7d5, v117
	v_mov_b32_e32 v54, v53
	v_fmac_f32_e32 v54, 0x3f06c442, v109
	v_add_f32_e32 v39, v54, v39
	v_mul_f32_e32 v54, 0xbf06c442, v119
	v_mov_b32_e32 v55, v54
	;; [unrolled: 4-line block ×3, first 2 shown]
	v_fmac_f32_e32 v41, 0x3dbcf732, v87
	v_fmac_f32_e32 v56, 0xbf4c4adb, v115
	v_add_f32_e32 v41, v41, v45
	v_fmac_f32_e32 v42, 0xbf7ba420, v91
	v_add_f32_e32 v39, v56, v39
	v_mul_f32_e32 v56, 0x3f4c4adb, v138
	v_add_f32_e32 v41, v42, v41
	v_fma_f32 v42, v88, s5, -v43
	v_mov_b32_e32 v158, v56
	v_add_f32_e32 v42, v42, v46
	v_fma_f32 v43, v92, s15, -v44
	v_fmac_f32_e32 v158, 0xbf1a4643, v116
	v_add_f32_e32 v42, v43, v42
	v_fma_f32 v43, v96, s10, -v48
	v_add_f32_e32 v40, v158, v40
	v_mul_f32_e32 v158, 0x3f3d2fb0, v153
	v_add_f32_e32 v42, v43, v42
	v_fma_f32 v43, v99, s2, -v50
	v_mov_b32_e32 v159, v158
	v_add_f32_e32 v42, v43, v42
	v_fma_f32 v43, v105, s4, -v52
	v_fmac_f32_e32 v159, 0xbf2c7751, v132
	v_add_f32_e32 v42, v43, v42
	v_fma_f32 v43, v110, s14, -v54
	v_add_f32_e32 v39, v159, v39
	v_mul_f32_e32 v159, 0x3f2c7751, v155
	v_fmac_f32_e32 v47, 0xbe8c1d8e, v95
	v_add_f32_e32 v42, v43, v42
	v_fma_f32 v43, v116, s11, -v56
	v_add_f32_e32 v41, v47, v41
	v_add_f32_e32 v42, v43, v42
	v_fma_f32 v43, v134, s3, -v159
	v_mul_f32_e32 v47, 0xbf763a35, v58
	v_fmac_f32_e32 v49, 0x3f6eb680, v98
	v_add_f32_e32 v42, v43, v42
	v_fma_f32 v43, v87, s10, -v47
	v_mul_f32_e32 v48, 0x3f06c442, v60
	v_add_f32_e32 v41, v49, v41
	v_add_f32_e32 v43, v43, v45
	v_fma_f32 v44, v91, s14, -v48
	v_mul_f32_e32 v49, 0xbf763a35, v57
	v_fmac_f32_e32 v51, 0x3ee437d1, v103
	v_add_f32_e32 v43, v44, v43
	v_mov_b32_e32 v44, v49
	v_mul_f32_e32 v50, 0x3f06c442, v59
	v_add_f32_e32 v41, v51, v41
	v_fmac_f32_e32 v44, 0xbe8c1d8e, v88
	v_mov_b32_e32 v51, v50
	v_add_f32_e32 v44, v44, v46
	v_fmac_f32_e32 v51, 0xbf59a7d5, v92
	v_add_f32_e32 v44, v51, v44
	v_mul_f32_e32 v51, 0x3f2c7751, v101
	v_fma_f32 v52, v95, s3, -v51
	v_fmac_f32_e32 v53, 0xbf06c442, v109
	v_add_f32_e32 v43, v52, v43
	v_mul_f32_e32 v52, 0x3f2c7751, v82
	v_add_f32_e32 v41, v53, v41
	v_mov_b32_e32 v53, v52
	v_fmac_f32_e32 v53, 0x3f3d2fb0, v96
	v_add_f32_e32 v44, v53, v44
	v_mul_f32_e32 v53, 0xbf65296c, v106
	v_fma_f32 v54, v98, s4, -v53
	v_fmac_f32_e32 v55, 0x3f4c4adb, v115
	v_add_f32_e32 v43, v54, v43
	v_mul_f32_e32 v54, 0xbf65296c, v107
	v_add_f32_e32 v41, v55, v41
	v_mov_b32_e32 v55, v54
	;; [unrolled: 9-line block ×3, first 2 shown]
	v_fmac_f32_e32 v158, 0xbf7ba420, v105
	v_add_f32_e32 v44, v158, v44
	v_mul_f32_e32 v158, 0x3dbcf732, v117
	v_mov_b32_e32 v160, v159
	v_mov_b32_e32 v159, v158
	v_fmac_f32_e32 v159, 0xbf7ee86f, v109
	v_fmac_f32_e32 v160, 0x3f3d2fb0, v134
	v_add_f32_e32 v43, v159, v43
	v_mul_f32_e32 v159, 0x3f7ee86f, v119
	v_add_f32_e32 v40, v160, v40
	v_mov_b32_e32 v160, v159
	v_fmac_f32_e32 v160, 0x3dbcf732, v110
	v_add_f32_e32 v44, v160, v44
	v_mul_f32_e32 v160, 0x3f6eb680, v136
	v_mov_b32_e32 v161, v160
	v_fmac_f32_e32 v47, 0xbe8c1d8e, v87
	v_fmac_f32_e32 v161, 0x3eb8f4ab, v115
	v_add_f32_e32 v47, v47, v45
	v_fmac_f32_e32 v48, 0xbf59a7d5, v91
	v_add_f32_e32 v43, v161, v43
	v_mul_f32_e32 v161, 0xbeb8f4ab, v138
	v_add_f32_e32 v47, v48, v47
	v_fma_f32 v48, v88, s10, -v49
	v_mov_b32_e32 v162, v161
	v_add_f32_e32 v48, v48, v46
	v_fma_f32 v49, v92, s14, -v50
	v_fmac_f32_e32 v162, 0x3f6eb680, v116
	v_add_f32_e32 v48, v49, v48
	v_fma_f32 v49, v96, s3, -v52
	v_add_f32_e32 v44, v162, v44
	v_mul_f32_e32 v162, 0xbf1a4643, v153
	v_add_f32_e32 v48, v49, v48
	v_fma_f32 v49, v99, s4, -v54
	v_mov_b32_e32 v163, v162
	v_add_f32_e32 v48, v49, v48
	v_fma_f32 v49, v105, s15, -v56
	v_fmac_f32_e32 v163, 0x3f4c4adb, v132
	v_add_f32_e32 v48, v49, v48
	v_fma_f32 v49, v110, s5, -v159
	v_add_f32_e32 v43, v163, v43
	v_mul_f32_e32 v163, 0xbf4c4adb, v155
	v_fmac_f32_e32 v51, 0x3f3d2fb0, v95
	v_add_f32_e32 v48, v49, v48
	v_fma_f32 v49, v116, s2, -v161
	v_add_f32_e32 v47, v51, v47
	v_add_f32_e32 v48, v49, v48
	v_fma_f32 v49, v134, s11, -v163
	v_mul_f32_e32 v51, 0xbf4c4adb, v58
	v_fmac_f32_e32 v53, 0x3ee437d1, v98
	v_add_f32_e32 v48, v49, v48
	v_fma_f32 v49, v87, s11, -v51
	v_mul_f32_e32 v52, 0x3f763a35, v60
	v_add_f32_e32 v47, v53, v47
	v_add_f32_e32 v49, v49, v45
	v_fma_f32 v50, v91, s10, -v52
	v_mul_f32_e32 v53, 0xbf4c4adb, v57
	v_fmac_f32_e32 v55, 0xbf7ba420, v103
	v_add_f32_e32 v49, v50, v49
	v_mov_b32_e32 v50, v53
	v_mul_f32_e32 v54, 0x3f763a35, v59
	v_add_f32_e32 v47, v55, v47
	v_fmac_f32_e32 v50, 0xbf1a4643, v88
	v_mov_b32_e32 v55, v54
	v_add_f32_e32 v50, v50, v46
	v_fmac_f32_e32 v55, 0xbe8c1d8e, v92
	v_add_f32_e32 v50, v55, v50
	v_mul_f32_e32 v55, 0xbeb8f4ab, v101
	v_fma_f32 v56, v95, s2, -v55
	v_fmac_f32_e32 v158, 0x3f7ee86f, v109
	v_add_f32_e32 v49, v56, v49
	v_mul_f32_e32 v56, 0xbeb8f4ab, v82
	v_add_f32_e32 v47, v158, v47
	v_mov_b32_e32 v158, v56
	v_fmac_f32_e32 v158, 0x3f6eb680, v96
	v_add_f32_e32 v50, v158, v50
	v_mul_f32_e32 v158, 0xbf06c442, v106
	v_fma_f32 v159, v98, s14, -v158
	v_fmac_f32_e32 v160, 0xbeb8f4ab, v115
	v_add_f32_e32 v49, v159, v49
	v_mul_f32_e32 v159, 0xbf06c442, v107
	v_add_f32_e32 v47, v160, v47
	v_mov_b32_e32 v160, v159
	;; [unrolled: 9-line block ×3, first 2 shown]
	v_fmac_f32_e32 v162, 0x3dbcf732, v105
	v_add_f32_e32 v50, v162, v50
	v_mul_f32_e32 v162, 0x3f3d2fb0, v117
	v_mov_b32_e32 v164, v163
	v_mov_b32_e32 v163, v162
	v_fmac_f32_e32 v163, 0x3f2c7751, v109
	v_fmac_f32_e32 v164, 0xbf1a4643, v134
	v_add_f32_e32 v49, v163, v49
	v_mul_f32_e32 v163, 0xbf2c7751, v119
	v_add_f32_e32 v44, v164, v44
	v_mov_b32_e32 v164, v163
	v_fmac_f32_e32 v164, 0x3f3d2fb0, v110
	v_add_f32_e32 v50, v164, v50
	v_mul_f32_e32 v164, 0xbf7ba420, v136
	v_mov_b32_e32 v165, v164
	v_fmac_f32_e32 v51, 0xbf1a4643, v87
	v_fmac_f32_e32 v165, 0x3e3c28d5, v115
	v_add_f32_e32 v51, v51, v45
	v_fmac_f32_e32 v52, 0xbe8c1d8e, v91
	v_add_f32_e32 v49, v165, v49
	v_mul_f32_e32 v165, 0xbe3c28d5, v138
	v_add_f32_e32 v51, v52, v51
	v_fma_f32 v52, v88, s11, -v53
	v_mov_b32_e32 v166, v165
	v_add_f32_e32 v52, v52, v46
	v_fma_f32 v53, v92, s10, -v54
	v_fmac_f32_e32 v166, 0xbf7ba420, v116
	v_add_f32_e32 v52, v53, v52
	v_fma_f32 v53, v96, s2, -v56
	v_add_f32_e32 v50, v166, v50
	v_mul_f32_e32 v166, 0x3ee437d1, v153
	v_add_f32_e32 v52, v53, v52
	v_fma_f32 v53, v99, s14, -v159
	v_mov_b32_e32 v167, v166
	v_add_f32_e32 v52, v53, v52
	v_fma_f32 v53, v105, s5, -v161
	v_fmac_f32_e32 v167, 0xbf65296c, v132
	v_add_f32_e32 v52, v53, v52
	v_fma_f32 v53, v110, s3, -v163
	v_add_f32_e32 v49, v167, v49
	v_mul_f32_e32 v167, 0x3f65296c, v155
	v_fmac_f32_e32 v55, 0x3f6eb680, v95
	v_add_f32_e32 v52, v53, v52
	v_fma_f32 v53, v116, s15, -v165
	v_add_f32_e32 v51, v55, v51
	v_add_f32_e32 v52, v53, v52
	v_fma_f32 v53, v134, s4, -v167
	v_mul_f32_e32 v55, 0xbf06c442, v58
	v_fmac_f32_e32 v158, 0xbf59a7d5, v98
	v_add_f32_e32 v52, v53, v52
	v_fma_f32 v53, v87, s14, -v55
	v_mul_f32_e32 v56, 0x3f65296c, v60
	v_add_f32_e32 v51, v158, v51
	v_add_f32_e32 v53, v53, v45
	v_fma_f32 v54, v91, s4, -v56
	v_mul_f32_e32 v158, 0xbf06c442, v57
	v_fmac_f32_e32 v160, 0x3dbcf732, v103
	v_add_f32_e32 v53, v54, v53
	v_mov_b32_e32 v54, v158
	v_mul_f32_e32 v159, 0x3f65296c, v59
	v_add_f32_e32 v51, v160, v51
	v_fmac_f32_e32 v54, 0xbf59a7d5, v88
	v_mov_b32_e32 v160, v159
	v_add_f32_e32 v54, v54, v46
	v_fmac_f32_e32 v160, 0x3ee437d1, v92
	v_add_f32_e32 v54, v160, v54
	v_mul_f32_e32 v160, 0xbf7ee86f, v101
	v_fma_f32 v161, v95, s5, -v160
	v_fmac_f32_e32 v162, 0xbf2c7751, v109
	v_add_f32_e32 v53, v161, v53
	v_mul_f32_e32 v161, 0xbf7ee86f, v82
	v_add_f32_e32 v51, v162, v51
	v_mov_b32_e32 v162, v161
	v_fmac_f32_e32 v162, 0x3dbcf732, v96
	v_add_f32_e32 v54, v162, v54
	v_mul_f32_e32 v162, 0x3f4c4adb, v106
	v_fma_f32 v163, v98, s11, -v162
	v_fmac_f32_e32 v164, 0xbe3c28d5, v115
	v_add_f32_e32 v53, v163, v53
	v_mul_f32_e32 v163, 0x3f4c4adb, v107
	v_add_f32_e32 v51, v164, v51
	v_mov_b32_e32 v164, v163
	;; [unrolled: 9-line block ×3, first 2 shown]
	v_fmac_f32_e32 v166, 0x3f6eb680, v105
	v_add_f32_e32 v54, v166, v54
	v_mul_f32_e32 v166, 0xbf7ba420, v117
	v_mov_b32_e32 v168, v167
	v_mov_b32_e32 v167, v166
	v_fmac_f32_e32 v167, 0x3e3c28d5, v109
	v_fmac_f32_e32 v168, 0x3ee437d1, v134
	v_add_f32_e32 v53, v167, v53
	v_mul_f32_e32 v167, 0xbe3c28d5, v119
	v_add_f32_e32 v50, v168, v50
	v_mov_b32_e32 v168, v167
	v_fmac_f32_e32 v168, 0xbf7ba420, v110
	v_add_f32_e32 v54, v168, v54
	v_mul_f32_e32 v168, 0x3f3d2fb0, v136
	v_mov_b32_e32 v169, v168
	v_fmac_f32_e32 v55, 0xbf59a7d5, v87
	v_fmac_f32_e32 v169, 0xbf2c7751, v115
	v_add_f32_e32 v55, v55, v45
	v_fmac_f32_e32 v56, 0x3ee437d1, v91
	v_add_f32_e32 v53, v169, v53
	v_mul_f32_e32 v169, 0x3f2c7751, v138
	v_add_f32_e32 v55, v56, v55
	v_fma_f32 v56, v88, s14, -v158
	v_mov_b32_e32 v170, v169
	v_add_f32_e32 v56, v56, v46
	v_fma_f32 v158, v92, s4, -v159
	v_fmac_f32_e32 v170, 0x3f3d2fb0, v116
	v_add_f32_e32 v56, v158, v56
	v_fma_f32 v158, v96, s5, -v161
	v_add_f32_e32 v54, v170, v54
	v_mul_f32_e32 v170, 0xbe8c1d8e, v153
	v_add_f32_e32 v56, v158, v56
	v_fma_f32 v158, v99, s11, -v163
	v_mov_b32_e32 v171, v170
	v_add_f32_e32 v56, v158, v56
	v_fma_f32 v158, v105, s2, -v165
	v_fmac_f32_e32 v171, 0x3f763a35, v132
	v_add_f32_e32 v56, v158, v56
	v_fma_f32 v158, v110, s15, -v167
	v_add_f32_e32 v53, v171, v53
	v_mul_f32_e32 v171, 0xbf763a35, v155
	v_add_f32_e32 v56, v158, v56
	v_fma_f32 v158, v116, s3, -v169
	v_add_f32_e32 v56, v158, v56
	v_fma_f32 v158, v134, s10, -v171
	v_add_f32_e32 v56, v158, v56
	v_mul_f32_e32 v158, 0xbe3c28d5, v58
	v_fma_f32 v58, v87, s15, -v158
	v_mul_f32_e32 v60, 0x3eb8f4ab, v60
	v_add_f32_e32 v58, v58, v45
	v_fma_f32 v159, v91, s2, -v60
	v_add_f32_e32 v58, v159, v58
	v_mul_f32_e32 v159, 0xbe3c28d5, v57
	v_fmac_f32_e32 v160, 0x3dbcf732, v95
	v_mov_b32_e32 v57, v159
	v_mul_f32_e32 v59, 0x3eb8f4ab, v59
	v_add_f32_e32 v55, v160, v55
	v_fmac_f32_e32 v57, 0xbf7ba420, v88
	v_mov_b32_e32 v160, v59
	v_add_f32_e32 v57, v57, v46
	v_fmac_f32_e32 v160, 0x3f6eb680, v92
	v_mul_f32_e32 v101, 0xbf06c442, v101
	v_add_f32_e32 v57, v160, v57
	v_fma_f32 v160, v95, s14, -v101
	v_mul_f32_e32 v82, 0xbf06c442, v82
	v_add_f32_e32 v58, v160, v58
	v_mov_b32_e32 v160, v82
	v_fmac_f32_e32 v160, 0xbf59a7d5, v96
	v_mul_f32_e32 v106, 0x3f2c7751, v106
	v_add_f32_e32 v57, v160, v57
	v_fma_f32 v160, v98, s3, -v106
	v_mul_f32_e32 v107, 0x3f2c7751, v107
	v_add_f32_e32 v58, v160, v58
	v_mov_b32_e32 v160, v107
	;; [unrolled: 7-line block ×3, first 2 shown]
	v_fmac_f32_e32 v160, 0xbf1a4643, v105
	v_mul_f32_e32 v117, 0x3ee437d1, v117
	v_add_f32_e32 v57, v160, v57
	v_mov_b32_e32 v160, v117
	v_fmac_f32_e32 v160, 0xbf65296c, v109
	v_mul_f32_e32 v119, 0x3f65296c, v119
	v_add_f32_e32 v58, v160, v58
	v_mov_b32_e32 v160, v119
	v_fmac_f32_e32 v158, 0xbf7ba420, v87
	v_fmac_f32_e32 v160, 0x3ee437d1, v110
	v_mul_f32_e32 v136, 0xbe8c1d8e, v136
	v_add_f32_e32 v158, v158, v45
	v_fmac_f32_e32 v60, 0x3f6eb680, v91
	v_add_f32_e32 v57, v160, v57
	v_mov_b32_e32 v160, v136
	v_add_f32_e32 v60, v60, v158
	v_fma_f32 v158, v88, s15, -v159
	v_fmac_f32_e32 v160, 0x3f763a35, v115
	v_mul_f32_e32 v138, 0xbf763a35, v138
	v_add_f32_e32 v158, v158, v46
	v_fma_f32 v59, v92, s2, -v59
	v_fmac_f32_e32 v101, 0xbf59a7d5, v95
	v_add_f32_e32 v58, v160, v58
	v_mov_b32_e32 v160, v138
	v_add_f32_e32 v59, v59, v158
	v_add_f32_e32 v60, v101, v60
	v_fma_f32 v82, v96, s14, -v82
	v_fmac_f32_e32 v106, 0x3f3d2fb0, v98
	v_fmac_f32_e32 v162, 0xbf1a4643, v98
	;; [unrolled: 1-line block ×3, first 2 shown]
	v_mul_f32_e32 v153, 0x3dbcf732, v153
	v_add_f32_e32 v59, v82, v59
	v_add_f32_e32 v60, v106, v60
	v_fma_f32 v82, v99, s3, -v107
	v_fmac_f32_e32 v112, 0xbf1a4643, v103
	v_add_f32_e32 v55, v162, v55
	v_fmac_f32_e32 v164, 0x3f6eb680, v103
	v_add_f32_e32 v160, v160, v57
	v_mov_b32_e32 v57, v153
	v_add_f32_e32 v59, v82, v59
	v_add_f32_e32 v60, v112, v60
	v_fma_f32 v82, v105, s11, -v113
	v_fmac_f32_e32 v117, 0x3f65296c, v109
	v_add_f32_e32 v55, v164, v55
	v_fmac_f32_e32 v166, 0xbe3c28d5, v109
	v_fmac_f32_e32 v57, 0xbf7ee86f, v132
	v_mul_f32_e32 v155, 0x3f7ee86f, v155
	v_add_f32_e32 v59, v82, v59
	v_add_f32_e32 v60, v117, v60
	v_fma_f32 v82, v110, s4, -v119
	v_fmac_f32_e32 v136, 0xbf763a35, v115
	v_mov_b32_e32 v172, v171
	v_add_f32_e32 v55, v166, v55
	v_fmac_f32_e32 v168, 0x3f2c7751, v115
	v_add_f32_e32 v57, v57, v58
	v_mov_b32_e32 v58, v155
	v_add_f32_e32 v59, v82, v59
	v_add_f32_e32 v60, v136, v60
	v_fma_f32 v82, v116, s10, -v138
	v_fmac_f32_e32 v153, 0x3f7ee86f, v132
	v_fmac_f32_e32 v172, 0xbe8c1d8e, v134
	v_add_f32_e32 v55, v168, v55
	v_fmac_f32_e32 v170, 0xbf763a35, v132
	v_fmac_f32_e32 v58, 0x3dbcf732, v134
	v_add_f32_e32 v82, v82, v59
	v_add_f32_e32 v59, v153, v60
	v_fma_f32 v60, v134, s5, -v155
	v_add_f32_e32 v54, v172, v54
	v_add_f32_e32 v55, v170, v55
	;; [unrolled: 1-line block ×4, first 2 shown]
	v_mul_lo_u16_e32 v82, 17, v78
	s_barrier
	s_and_saveexec_b64 s[2:3], vcc
	s_cbranch_execz .LBB0_7
; %bb.6:
	v_mul_f32_e32 v101, 0x3f6eb680, v87
	v_mul_f32_e32 v107, 0x3f3d2fb0, v87
	;; [unrolled: 1-line block ×9, first 2 shown]
	v_sub_f32_e32 v87, v87, v140
	v_mul_f32_e32 v117, 0x3f3d2fb0, v92
	v_mul_f32_e32 v136, 0x3dbcf732, v92
	;; [unrolled: 1-line block ×6, first 2 shown]
	v_add_f32_e32 v88, v145, v88
	v_add_f32_e32 v87, v87, v45
	v_sub_f32_e32 v91, v91, v141
	v_mul_f32_e32 v153, 0x3ee437d1, v96
	v_mul_f32_e32 v158, 0xbf1a4643, v96
	;; [unrolled: 1-line block ×6, first 2 shown]
	v_add_f32_e32 v88, v88, v46
	v_add_f32_e32 v92, v146, v92
	;; [unrolled: 1-line block ×3, first 2 shown]
	v_sub_f32_e32 v91, v95, v142
	v_mul_f32_e32 v160, 0x3dbcf732, v99
	v_mul_f32_e32 v162, 0xbf7ba420, v99
	v_mul_f32_e32 v99, 0xbe8c1d8e, v99
	v_mul_f32_e32 v163, 0xbe8c1d8e, v103
	v_mul_f32_e32 v165, 0xbf59a7d5, v103
	v_mul_f32_e32 v103, 0x3f3d2fb0, v103
	v_add_f32_e32 v88, v92, v88
	v_add_f32_e32 v92, v148, v96
	v_add_f32_e32 v87, v91, v87
	v_sub_f32_e32 v91, v98, v143
	v_add_f32_e32 v13, v13, v46
	v_mul_f32_e32 v164, 0xbe8c1d8e, v105
	v_mul_f32_e32 v166, 0xbf59a7d5, v105
	v_mul_f32_e32 v105, 0x3f3d2fb0, v105
	v_mul_f32_e32 v167, 0xbf4c4adb, v109
	v_mul_f32_e32 v169, 0x3f763a35, v109
	v_mul_f32_e32 v109, 0xbeb8f4ab, v109
	v_add_f32_e32 v88, v92, v88
	v_add_f32_e32 v92, v150, v99
	v_add_f32_e32 v87, v91, v87
	v_sub_f32_e32 v91, v103, v144
	v_add_f32_e32 v13, v15, v13
	;; [unrolled: 11-line block ×4, first 2 shown]
	v_mul_f32_e32 v176, 0xbf7ba420, v134
	v_mul_f32_e32 v178, 0x3f6eb680, v134
	;; [unrolled: 1-line block ×3, first 2 shown]
	v_add_f32_e32 v88, v92, v88
	v_add_f32_e32 v92, v116, v156
	;; [unrolled: 1-line block ×3, first 2 shown]
	v_sub_f32_e32 v91, v151, v132
	v_add_f32_e32 v5, v5, v13
	v_add_f32_e32 v88, v92, v88
	;; [unrolled: 1-line block ×30, first 2 shown]
	v_sub_f32_e32 v83, v101, v83
	v_add_f32_e32 v5, v11, v5
	v_add_f32_e32 v4, v10, v4
	v_add_f32_e32 v92, v92, v91
	v_sub_f32_e32 v91, v107, v120
	v_add_f32_e32 v84, v84, v46
	v_add_f32_e32 v86, v86, v117
	v_add_f32_e32 v83, v83, v45
	;; [unrolled: 4-line block ×16, first 2 shown]
	v_add_f32_e32 v4, v34, v4
	v_add_lshl_u32 v6, v81, v82, 3
	v_add_f32_e32 v91, v95, v91
	ds_write2_b64 v6, v[4:5], v[83:84] offset1:1
	ds_write2_b64 v6, v[91:92], v[87:88] offset0:2 offset1:3
	ds_write2_b64 v6, v[39:40], v[43:44] offset0:4 offset1:5
	ds_write2_b64 v6, v[49:50], v[53:54] offset0:6 offset1:7
	ds_write2_b64 v6, v[57:58], v[59:60] offset0:8 offset1:9
	ds_write2_b64 v6, v[55:56], v[51:52] offset0:10 offset1:11
	ds_write2_b64 v6, v[47:48], v[41:42] offset0:12 offset1:13
	ds_write2_b64 v6, v[37:38], v[0:1] offset0:14 offset1:15
	ds_write_b64 v6, v[2:3] offset:128
.LBB0_7:
	s_or_b64 exec, exec, s[2:3]
	v_mad_u64_u32 v[8:9], s[4:5], v78, 24, s[8:9]
	s_load_dwordx4 s[0:3], s[0:1], 0x0
	s_waitcnt lgkmcnt(0)
	s_barrier
	global_load_dwordx4 v[4:7], v[8:9], off
	global_load_dwordx2 v[16:17], v[8:9], off offset:16
	v_add_lshl_u32 v31, v81, v78, 3
	ds_read2_b64 v[8:11], v31 offset1:17
	ds_read2_b64 v[12:15], v31 offset0:34 offset1:51
	v_lshl_add_u32 v30, v78, 3, v80
	s_waitcnt vmcnt(1) lgkmcnt(1)
	v_mul_f32_e32 v18, v11, v5
	v_mul_f32_e32 v19, v10, v5
	s_waitcnt lgkmcnt(0)
	v_mul_f32_e32 v20, v13, v7
	v_mul_f32_e32 v21, v12, v7
	s_waitcnt vmcnt(0)
	v_mul_f32_e32 v22, v15, v17
	v_mul_f32_e32 v23, v14, v17
	v_fma_f32 v10, v10, v4, -v18
	v_fmac_f32_e32 v19, v11, v4
	v_fma_f32 v11, v12, v6, -v20
	v_fmac_f32_e32 v21, v13, v6
	;; [unrolled: 2-line block ×3, first 2 shown]
	v_sub_f32_e32 v14, v8, v11
	v_sub_f32_e32 v15, v9, v21
	;; [unrolled: 1-line block ×4, first 2 shown]
	v_fma_f32 v18, v8, 2.0, -v14
	v_fma_f32 v20, v9, 2.0, -v15
	;; [unrolled: 1-line block ×4, first 2 shown]
	v_sub_f32_e32 v12, v14, v12
	v_add_f32_e32 v13, v15, v11
	v_sub_f32_e32 v10, v18, v8
	v_sub_f32_e32 v11, v20, v9
	v_fma_f32 v8, v14, 2.0, -v12
	v_fma_f32 v9, v15, 2.0, -v13
	;; [unrolled: 1-line block ×4, first 2 shown]
	ds_write2_b64 v30, v[10:11], v[12:13] offset0:34 offset1:51
	ds_write2_b64 v30, v[18:19], v[8:9] offset1:17
	s_waitcnt lgkmcnt(0)
	s_barrier
	s_and_saveexec_b64 s[4:5], vcc
	s_cbranch_execz .LBB0_9
; %bb.8:
	global_load_dwordx2 v[14:15], v62, s[6:7] offset:544
	s_add_u32 s8, s6, 0x220
	s_addc_u32 s9, s7, 0
	global_load_dwordx2 v[28:29], v62, s[8:9] offset:32
	global_load_dwordx2 v[45:46], v62, s[8:9] offset:64
	;; [unrolled: 1-line block ×14, first 2 shown]
	ds_read_b64 v[20:21], v79
	global_load_dwordx2 v[123:124], v62, s[8:9] offset:480
	global_load_dwordx2 v[125:126], v62, s[8:9] offset:512
	s_waitcnt vmcnt(16) lgkmcnt(0)
	v_mul_f32_e32 v22, v21, v15
	v_mul_f32_e32 v23, v20, v15
	v_fma_f32 v22, v20, v14, -v22
	v_fmac_f32_e32 v23, v21, v14
	ds_write_b64 v79, v[22:23]
	ds_read2_b64 v[20:23], v30 offset0:4 offset1:8
	ds_read2_b64 v[24:27], v30 offset0:12 offset1:16
	ds_read2_b64 v[32:35], v30 offset0:20 offset1:24
	ds_read2_b64 v[83:86], v30 offset0:28 offset1:32
	ds_read2_b64 v[87:90], v30 offset0:36 offset1:40
	ds_read2_b64 v[91:94], v30 offset0:44 offset1:48
	ds_read2_b64 v[95:98], v30 offset0:52 offset1:56
	s_waitcnt vmcnt(15) lgkmcnt(6)
	v_mul_f32_e32 v14, v21, v29
	v_mul_f32_e32 v15, v20, v29
	s_waitcnt vmcnt(14)
	v_mul_f32_e32 v81, v23, v46
	v_mul_f32_e32 v29, v22, v46
	s_waitcnt vmcnt(13) lgkmcnt(5)
	v_mul_f32_e32 v127, v25, v100
	v_mul_f32_e32 v46, v24, v100
	s_waitcnt vmcnt(12)
	v_mul_f32_e32 v128, v27, v102
	v_mul_f32_e32 v100, v26, v102
	;; [unrolled: 6-line block ×6, first 2 shown]
	v_fma_f32 v14, v20, v28, -v14
	v_fmac_f32_e32 v15, v21, v28
	v_fma_f32 v28, v22, v45, -v81
	v_fmac_f32_e32 v29, v23, v45
	;; [unrolled: 2-line block ×12, first 2 shown]
	ds_write2_b64 v30, v[14:15], v[28:29] offset0:4 offset1:8
	ds_write2_b64 v30, v[45:46], v[99:100] offset0:12 offset1:16
	;; [unrolled: 1-line block ×6, first 2 shown]
	ds_read2_b64 v[20:23], v30 offset0:60 offset1:64
	s_waitcnt vmcnt(3) lgkmcnt(7)
	v_mul_f32_e32 v137, v96, v120
	v_mul_f32_e32 v118, v95, v120
	s_waitcnt vmcnt(2)
	v_mul_f32_e32 v120, v98, v122
	v_mul_f32_e32 v15, v97, v122
	v_fma_f32 v117, v95, v119, -v137
	v_fmac_f32_e32 v118, v96, v119
	v_fma_f32 v14, v97, v121, -v120
	v_fmac_f32_e32 v15, v98, v121
	ds_write2_b64 v30, v[117:118], v[14:15] offset0:52 offset1:56
	s_waitcnt vmcnt(1) lgkmcnt(1)
	v_mul_f32_e32 v14, v21, v124
	v_mul_f32_e32 v15, v20, v124
	v_fma_f32 v14, v20, v123, -v14
	v_fmac_f32_e32 v15, v21, v123
	s_waitcnt vmcnt(0)
	v_mul_f32_e32 v20, v23, v126
	v_mul_f32_e32 v21, v22, v126
	v_fma_f32 v20, v22, v125, -v20
	v_fmac_f32_e32 v21, v23, v125
	ds_write2_b64 v30, v[14:15], v[20:21] offset0:60 offset1:64
.LBB0_9:
	s_or_b64 exec, exec, s[4:5]
	s_waitcnt lgkmcnt(0)
	s_barrier
	s_and_saveexec_b64 s[4:5], vcc
	s_cbranch_execz .LBB0_11
; %bb.10:
	ds_read_b64 v[18:19], v79
	ds_read2_b64 v[8:11], v30 offset0:4 offset1:8
	ds_read2_b64 v[12:15], v30 offset0:12 offset1:16
	;; [unrolled: 1-line block ×8, first 2 shown]
	s_waitcnt lgkmcnt(5)
	v_mov_b32_e32 v50, v23
	v_mov_b32_e32 v49, v22
	s_waitcnt lgkmcnt(4)
	v_mov_b32_e32 v54, v25
	v_mov_b32_e32 v53, v24
	;; [unrolled: 1-line block ×4, first 2 shown]
	s_waitcnt lgkmcnt(1)
	v_mov_b32_e32 v38, v42
	v_mov_b32_e32 v37, v41
	v_mov_b32_e32 v42, v40
	v_mov_b32_e32 v41, v39
	v_mov_b32_e32 v48, v46
	v_mov_b32_e32 v47, v45
	v_mov_b32_e32 v52, v44
	v_mov_b32_e32 v51, v43
	v_mov_b32_e32 v56, v35
	v_mov_b32_e32 v55, v34
	v_mov_b32_e32 v60, v33
	v_mov_b32_e32 v59, v32
	v_mov_b32_e32 v43, v20
	v_mov_b32_e32 v44, v21
	v_mov_b32_e32 v39, v14
	v_mov_b32_e32 v40, v15
.LBB0_11:
	s_or_b64 exec, exec, s[4:5]
	s_waitcnt lgkmcnt(0)
	s_barrier
	s_and_saveexec_b64 s[4:5], vcc
	s_cbranch_execz .LBB0_13
; %bb.12:
	v_add_f32_e32 v107, v3, v9
	v_mul_f32_e32 v92, 0xbf7ba420, v107
	v_add_f32_e32 v108, v1, v11
	v_sub_f32_e32 v32, v8, v2
	v_mov_b32_e32 v14, v92
	v_mul_f32_e32 v93, 0x3f6eb680, v108
	v_fmac_f32_e32 v14, 0x3e3c28d5, v32
	v_sub_f32_e32 v33, v10, v0
	v_mov_b32_e32 v15, v93
	v_add_f32_e32 v109, v38, v13
	v_add_f32_e32 v14, v19, v14
	v_fmac_f32_e32 v15, 0xbeb8f4ab, v33
	v_mul_f32_e32 v94, 0xbf59a7d5, v109
	v_add_f32_e32 v14, v15, v14
	v_sub_f32_e32 v34, v12, v37
	v_mov_b32_e32 v15, v94
	v_add_f32_e32 v110, v42, v40
	v_fmac_f32_e32 v15, 0x3f06c442, v34
	v_mul_f32_e32 v95, 0x3f3d2fb0, v110
	v_add_f32_e32 v14, v15, v14
	v_sub_f32_e32 v35, v39, v41
	v_mov_b32_e32 v15, v95
	;; [unrolled: 6-line block ×3, first 2 shown]
	v_sub_f32_e32 v112, v49, v51
	v_fmac_f32_e32 v15, 0x3f4c4adb, v45
	v_add_f32_e32 v46, v50, v52
	v_mul_f32_e32 v97, 0x3f65296c, v112
	s_mov_b32 s15, 0x3ee437d1
	v_sub_f32_e32 v113, v53, v55
	v_add_f32_e32 v14, v15, v14
	v_fma_f32 v15, v46, s15, -v97
	v_add_f32_e32 v81, v54, v56
	v_mul_f32_e32 v98, 0xbf763a35, v113
	s_mov_b32 s16, 0xbe8c1d8e
	v_sub_f32_e32 v114, v57, v59
	v_add_f32_e32 v14, v15, v14
	v_fma_f32 v15, v81, s16, -v98
	;; [unrolled: 6-line block ×3, first 2 shown]
	v_mul_f32_e32 v100, 0xbe3c28d5, v115
	v_sub_f32_e32 v116, v11, v1
	v_add_f32_e32 v15, v15, v14
	v_add_f32_e32 v84, v2, v8
	v_mov_b32_e32 v14, v100
	v_mul_f32_e32 v101, 0x3eb8f4ab, v116
	v_fmac_f32_e32 v14, 0xbf7ba420, v84
	v_add_f32_e32 v85, v0, v10
	v_mov_b32_e32 v20, v101
	v_sub_f32_e32 v117, v13, v38
	v_add_f32_e32 v14, v18, v14
	v_fmac_f32_e32 v20, 0x3f6eb680, v85
	v_mul_f32_e32 v102, 0xbf06c442, v117
	v_add_f32_e32 v14, v20, v14
	v_add_f32_e32 v86, v37, v12
	v_mov_b32_e32 v20, v102
	v_sub_f32_e32 v118, v40, v42
	v_fmac_f32_e32 v20, 0xbf59a7d5, v86
	v_mul_f32_e32 v103, 0x3f2c7751, v118
	v_add_f32_e32 v14, v20, v14
	v_add_f32_e32 v87, v41, v39
	v_mov_b32_e32 v20, v103
	v_sub_f32_e32 v119, v44, v48
	;; [unrolled: 6-line block ×5, first 2 shown]
	v_fmac_f32_e32 v20, 0xbe8c1d8e, v90
	v_mul_f32_e32 v125, 0x3f7ee86f, v124
	v_add_f32_e32 v14, v20, v14
	v_add_f32_e32 v91, v57, v59
	v_mov_b32_e32 v20, v125
	v_fmac_f32_e32 v20, 0x3dbcf732, v91
	v_mul_f32_e32 v126, 0xbf59a7d5, v107
	v_add_f32_e32 v14, v20, v14
	v_mov_b32_e32 v20, v126
	v_mul_f32_e32 v127, 0x3ee437d1, v108
	v_fmac_f32_e32 v20, 0x3f06c442, v32
	v_mov_b32_e32 v21, v127
	v_add_f32_e32 v20, v19, v20
	v_fmac_f32_e32 v21, 0xbf65296c, v33
	v_mul_f32_e32 v128, 0x3dbcf732, v109
	v_add_f32_e32 v20, v21, v20
	v_mov_b32_e32 v21, v128
	v_fmac_f32_e32 v21, 0x3f7ee86f, v34
	v_mul_f32_e32 v129, 0xbf1a4643, v110
	v_add_f32_e32 v20, v21, v20
	v_mov_b32_e32 v21, v129
	;; [unrolled: 4-line block ×3, first 2 shown]
	s_mov_b32 s8, 0xbf7ba420
	v_fmac_f32_e32 v21, 0x3eb8f4ab, v45
	v_mul_f32_e32 v131, 0xbe3c28d5, v112
	s_mov_b32 s14, 0x3f3d2fb0
	v_add_f32_e32 v20, v21, v20
	v_fma_f32 v21, v46, s8, -v131
	v_mul_f32_e32 v132, 0x3f2c7751, v113
	v_add_f32_e32 v20, v21, v20
	v_fma_f32 v21, v81, s14, -v132
	v_mul_f32_e32 v133, 0xbf763a35, v114
	;; [unrolled: 3-line block ×3, first 2 shown]
	v_add_f32_e32 v21, v21, v20
	v_mov_b32_e32 v20, v134
	v_mul_f32_e32 v135, 0x3f65296c, v116
	v_fmac_f32_e32 v20, 0xbf59a7d5, v84
	v_mov_b32_e32 v22, v135
	v_add_f32_e32 v20, v18, v20
	v_fmac_f32_e32 v22, 0x3ee437d1, v85
	v_mul_f32_e32 v136, 0xbf7ee86f, v117
	v_add_f32_e32 v20, v22, v20
	v_mov_b32_e32 v22, v136
	v_fmac_f32_e32 v22, 0x3dbcf732, v86
	v_mul_f32_e32 v137, 0x3f4c4adb, v118
	v_add_f32_e32 v20, v22, v20
	v_mov_b32_e32 v22, v137
	;; [unrolled: 4-line block ×7, first 2 shown]
	v_mul_f32_e32 v143, 0xbe8c1d8e, v108
	v_fmac_f32_e32 v22, 0x3f4c4adb, v32
	v_mov_b32_e32 v23, v143
	v_add_f32_e32 v22, v19, v22
	v_fmac_f32_e32 v23, 0xbf763a35, v33
	v_mul_f32_e32 v144, 0x3f6eb680, v109
	v_add_f32_e32 v22, v23, v22
	v_mov_b32_e32 v23, v144
	v_fmac_f32_e32 v23, 0x3eb8f4ab, v34
	v_mul_f32_e32 v145, 0xbf59a7d5, v110
	v_add_f32_e32 v22, v23, v22
	v_mov_b32_e32 v23, v145
	;; [unrolled: 4-line block ×3, first 2 shown]
	v_fmac_f32_e32 v23, 0xbf7ee86f, v45
	v_mul_f32_e32 v147, 0xbf2c7751, v112
	v_add_f32_e32 v22, v23, v22
	v_fma_f32 v23, v46, s14, -v147
	v_mul_f32_e32 v148, 0xbe3c28d5, v113
	v_add_f32_e32 v22, v23, v22
	v_fma_f32 v23, v81, s8, -v148
	v_mul_f32_e32 v149, 0x3f65296c, v114
	v_add_f32_e32 v22, v23, v22
	v_fma_f32 v23, v83, s15, -v149
	v_mul_f32_e32 v150, 0xbf4c4adb, v115
	v_add_f32_e32 v23, v23, v22
	v_mov_b32_e32 v22, v150
	v_mul_f32_e32 v151, 0x3f763a35, v116
	v_fmac_f32_e32 v22, 0xbf1a4643, v84
	v_mov_b32_e32 v24, v151
	v_add_f32_e32 v22, v18, v22
	v_fmac_f32_e32 v24, 0xbe8c1d8e, v85
	v_mul_f32_e32 v152, 0xbeb8f4ab, v117
	v_add_f32_e32 v22, v24, v22
	v_mov_b32_e32 v24, v152
	v_fmac_f32_e32 v24, 0x3f6eb680, v86
	v_mul_f32_e32 v153, 0xbf06c442, v118
	v_add_f32_e32 v22, v24, v22
	v_mov_b32_e32 v24, v153
	;; [unrolled: 4-line block ×7, first 2 shown]
	v_mul_f32_e32 v159, 0xbf59a7d5, v108
	v_fmac_f32_e32 v24, 0x3f763a35, v32
	v_mov_b32_e32 v25, v159
	v_add_f32_e32 v24, v19, v24
	v_fmac_f32_e32 v25, 0xbf06c442, v33
	v_mul_f32_e32 v160, 0x3f3d2fb0, v109
	v_add_f32_e32 v24, v25, v24
	v_mov_b32_e32 v25, v160
	v_fmac_f32_e32 v25, 0xbf2c7751, v34
	v_mul_f32_e32 v161, 0x3ee437d1, v110
	v_add_f32_e32 v24, v25, v24
	v_mov_b32_e32 v25, v161
	;; [unrolled: 4-line block ×3, first 2 shown]
	v_add_f32_e32 v9, v9, v19
	v_fmac_f32_e32 v25, 0x3e3c28d5, v45
	v_mul_f32_e32 v163, 0x3f7ee86f, v112
	v_add_f32_e32 v9, v11, v9
	s_mov_b32 s10, 0x3f6eb680
	v_add_f32_e32 v24, v25, v24
	v_fma_f32 v25, v46, s17, -v163
	v_mul_f32_e32 v164, 0xbeb8f4ab, v113
	v_add_f32_e32 v9, v13, v9
	v_add_f32_e32 v24, v25, v24
	v_fma_f32 v25, v81, s10, -v164
	v_mul_f32_e32 v165, 0xbf4c4adb, v114
	v_add_f32_e32 v9, v40, v9
	;; [unrolled: 4-line block ×3, first 2 shown]
	v_add_f32_e32 v25, v25, v24
	v_mov_b32_e32 v24, v166
	v_mul_f32_e32 v167, 0x3f06c442, v116
	v_add_f32_e32 v9, v50, v9
	v_fmac_f32_e32 v24, 0xbe8c1d8e, v84
	v_mov_b32_e32 v26, v167
	v_add_f32_e32 v9, v54, v9
	v_add_f32_e32 v24, v18, v24
	v_fmac_f32_e32 v26, 0xbf59a7d5, v85
	v_mul_f32_e32 v168, 0x3f2c7751, v117
	v_add_f32_e32 v9, v58, v9
	v_add_f32_e32 v24, v26, v24
	v_mov_b32_e32 v26, v168
	v_add_f32_e32 v9, v60, v9
	v_fmac_f32_e32 v26, 0x3f3d2fb0, v86
	v_mul_f32_e32 v169, 0xbf65296c, v118
	v_add_f32_e32 v9, v56, v9
	v_add_f32_e32 v24, v26, v24
	v_mov_b32_e32 v26, v169
	v_add_f32_e32 v9, v52, v9
	v_fmac_f32_e32 v26, 0x3ee437d1, v87
	v_mul_f32_e32 v170, 0xbe3c28d5, v119
	v_add_f32_e32 v9, v48, v9
	v_add_f32_e32 v24, v26, v24
	v_mov_b32_e32 v26, v170
	v_add_f32_e32 v9, v42, v9
	v_fmac_f32_e32 v26, 0xbf7ba420, v88
	v_mul_f32_e32 v171, 0x3f7ee86f, v120
	v_add_f32_e32 v9, v38, v9
	v_add_f32_e32 v24, v26, v24
	v_mov_b32_e32 v26, v171
	v_add_f32_e32 v1, v1, v9
	v_fmac_f32_e32 v26, 0x3dbcf732, v89
	v_mul_f32_e32 v172, 0xbeb8f4ab, v122
	v_add_f32_e32 v1, v3, v1
	v_add_f32_e32 v3, v8, v18
	v_add_f32_e32 v24, v26, v24
	v_mov_b32_e32 v26, v172
	v_add_f32_e32 v3, v10, v3
	v_fmac_f32_e32 v26, 0x3f6eb680, v90
	v_mul_f32_e32 v173, 0xbf4c4adb, v124
	v_add_f32_e32 v3, v12, v3
	v_add_f32_e32 v24, v26, v24
	v_mov_b32_e32 v26, v173
	v_add_f32_e32 v3, v39, v3
	v_fmac_f32_e32 v26, 0xbf1a4643, v91
	v_mul_f32_e32 v174, 0x3dbcf732, v107
	v_add_f32_e32 v3, v43, v3
	v_add_f32_e32 v24, v26, v24
	v_mov_b32_e32 v26, v174
	v_mul_f32_e32 v175, 0xbf7ba420, v108
	v_add_f32_e32 v3, v49, v3
	v_fmac_f32_e32 v26, 0x3f7ee86f, v32
	v_mov_b32_e32 v27, v175
	v_add_f32_e32 v3, v53, v3
	v_add_f32_e32 v26, v19, v26
	v_fmac_f32_e32 v27, 0x3e3c28d5, v33
	v_mul_f32_e32 v176, 0xbe8c1d8e, v109
	v_add_f32_e32 v3, v57, v3
	v_add_f32_e32 v26, v27, v26
	v_mov_b32_e32 v27, v176
	v_add_f32_e32 v3, v59, v3
	v_fmac_f32_e32 v27, 0xbf763a35, v34
	v_mul_f32_e32 v177, 0x3f6eb680, v110
	v_add_f32_e32 v3, v55, v3
	v_add_f32_e32 v26, v27, v26
	v_mov_b32_e32 v27, v177
	;; [unrolled: 6-line block ×3, first 2 shown]
	v_add_f32_e32 v3, v41, v3
	s_mov_b32 s9, 0xbf59a7d5
	v_fmac_f32_e32 v27, 0x3f65296c, v45
	v_mul_f32_e32 v179, 0xbf06c442, v112
	v_add_f32_e32 v3, v37, v3
	v_add_f32_e32 v26, v27, v26
	v_fma_f32 v27, v46, s9, -v179
	v_mul_f32_e32 v180, 0x3f4c4adb, v113
	v_add_f32_e32 v0, v0, v3
	v_fmac_f32_e32 v92, 0xbe3c28d5, v32
	v_add_f32_e32 v26, v27, v26
	v_fma_f32 v27, v81, s11, -v180
	v_mul_f32_e32 v181, 0x3f2c7751, v114
	v_add_f32_e32 v0, v2, v0
	v_add_f32_e32 v2, v19, v92
	v_fmac_f32_e32 v93, 0x3eb8f4ab, v33
	v_add_f32_e32 v26, v27, v26
	v_fma_f32 v27, v83, s14, -v181
	v_mul_f32_e32 v182, 0xbf7ee86f, v115
	v_add_f32_e32 v2, v93, v2
	v_fmac_f32_e32 v94, 0xbf06c442, v34
	v_add_f32_e32 v27, v27, v26
	v_mov_b32_e32 v26, v182
	v_mul_f32_e32 v183, 0xbe3c28d5, v116
	v_add_f32_e32 v2, v94, v2
	v_fmac_f32_e32 v95, 0x3f2c7751, v35
	v_fmac_f32_e32 v26, 0x3dbcf732, v84
	v_mov_b32_e32 v28, v183
	v_add_f32_e32 v2, v95, v2
	v_fmac_f32_e32 v96, 0xbf4c4adb, v45
	v_add_f32_e32 v26, v18, v26
	v_fmac_f32_e32 v28, 0xbf7ba420, v85
	v_mul_f32_e32 v184, 0x3f763a35, v117
	v_add_f32_e32 v2, v96, v2
	v_fmac_f32_e32 v97, 0x3ee437d1, v46
	v_add_f32_e32 v26, v28, v26
	v_mov_b32_e32 v28, v184
	v_add_f32_e32 v2, v97, v2
	v_fmac_f32_e32 v98, 0xbe8c1d8e, v81
	v_fmac_f32_e32 v28, 0xbe8c1d8e, v86
	v_mul_f32_e32 v185, 0x3eb8f4ab, v118
	v_add_f32_e32 v2, v98, v2
	v_fmac_f32_e32 v99, 0x3dbcf732, v83
	v_add_f32_e32 v26, v28, v26
	v_mov_b32_e32 v28, v185
	v_add_f32_e32 v3, v99, v2
	v_fma_f32 v2, v84, s8, -v100
	v_fmac_f32_e32 v28, 0x3f6eb680, v87
	v_mul_f32_e32 v186, 0xbf65296c, v119
	v_add_f32_e32 v2, v18, v2
	v_fma_f32 v8, v85, s10, -v101
	v_add_f32_e32 v26, v28, v26
	v_mov_b32_e32 v28, v186
	v_add_f32_e32 v2, v8, v2
	v_fma_f32 v8, v86, s9, -v102
	v_fmac_f32_e32 v28, 0x3ee437d1, v88
	v_mul_f32_e32 v187, 0xbf06c442, v120
	v_add_f32_e32 v2, v8, v2
	v_fma_f32 v8, v87, s14, -v103
	;; [unrolled: 8-line block ×4, first 2 shown]
	v_fmac_f32_e32 v126, 0xbf06c442, v32
	v_add_f32_e32 v26, v28, v26
	v_mov_b32_e32 v28, v189
	v_add_f32_e32 v2, v8, v2
	v_add_f32_e32 v8, v19, v126
	v_fmac_f32_e32 v127, 0x3f65296c, v33
	v_fmac_f32_e32 v28, 0x3f3d2fb0, v91
	v_mul_f32_e32 v190, 0x3ee437d1, v107
	v_add_f32_e32 v8, v127, v8
	v_fmac_f32_e32 v128, 0xbf7ee86f, v34
	v_add_f32_e32 v26, v28, v26
	v_mov_b32_e32 v28, v190
	v_mul_f32_e32 v191, 0xbf1a4643, v108
	v_add_f32_e32 v8, v128, v8
	v_fmac_f32_e32 v129, 0x3f4c4adb, v35
	v_fmac_f32_e32 v28, 0x3f65296c, v32
	v_mov_b32_e32 v29, v191
	v_add_f32_e32 v8, v129, v8
	v_fmac_f32_e32 v130, 0xbeb8f4ab, v45
	v_add_f32_e32 v28, v19, v28
	v_fmac_f32_e32 v29, 0x3f4c4adb, v33
	v_mul_f32_e32 v192, 0xbf7ba420, v109
	v_add_f32_e32 v8, v130, v8
	v_fmac_f32_e32 v131, 0xbf7ba420, v46
	v_add_f32_e32 v28, v29, v28
	v_mov_b32_e32 v29, v192
	v_add_f32_e32 v8, v131, v8
	v_fmac_f32_e32 v132, 0x3f3d2fb0, v81
	v_fmac_f32_e32 v29, 0xbe3c28d5, v34
	v_mul_f32_e32 v193, 0xbe8c1d8e, v110
	v_add_f32_e32 v8, v132, v8
	v_fmac_f32_e32 v133, 0xbe8c1d8e, v83
	v_add_f32_e32 v28, v29, v28
	v_mov_b32_e32 v29, v193
	v_add_f32_e32 v9, v133, v8
	v_fma_f32 v8, v84, s9, -v134
	v_fmac_f32_e32 v29, 0xbf763a35, v35
	v_mul_f32_e32 v194, 0x3f3d2fb0, v111
	v_add_f32_e32 v8, v18, v8
	v_fma_f32 v10, v85, s15, -v135
	v_add_f32_e32 v28, v29, v28
	v_mov_b32_e32 v29, v194
	v_add_f32_e32 v8, v10, v8
	v_fma_f32 v10, v86, s17, -v136
	v_fmac_f32_e32 v29, 0xbf2c7751, v45
	v_mul_f32_e32 v195, 0xbeb8f4ab, v112
	v_add_f32_e32 v8, v10, v8
	v_fma_f32 v10, v87, s11, -v137
	v_add_f32_e32 v28, v29, v28
	v_fma_f32 v29, v46, s10, -v195
	v_mul_f32_e32 v196, 0xbf7ee86f, v113
	v_add_f32_e32 v8, v10, v8
	v_fma_f32 v10, v88, s10, -v138
	v_add_f32_e32 v28, v29, v28
	v_fma_f32 v29, v81, s17, -v196
	v_mul_f32_e32 v197, 0xbf06c442, v114
	v_add_f32_e32 v8, v10, v8
	v_fma_f32 v10, v89, s8, -v139
	v_add_f32_e32 v28, v29, v28
	v_fma_f32 v29, v83, s9, -v197
	v_mul_f32_e32 v198, 0xbf65296c, v115
	v_add_f32_e32 v8, v10, v8
	v_fma_f32 v10, v90, s14, -v140
	v_add_f32_e32 v29, v29, v28
	v_mov_b32_e32 v28, v198
	v_mul_f32_e32 v199, 0xbf4c4adb, v116
	v_add_f32_e32 v8, v10, v8
	v_fma_f32 v10, v91, s16, -v141
	v_fmac_f32_e32 v142, 0xbf4c4adb, v32
	v_fmac_f32_e32 v28, 0x3ee437d1, v84
	v_mov_b32_e32 v105, v199
	v_add_f32_e32 v8, v10, v8
	v_add_f32_e32 v10, v19, v142
	v_fmac_f32_e32 v143, 0x3f763a35, v33
	v_add_f32_e32 v28, v18, v28
	v_fmac_f32_e32 v105, 0xbf1a4643, v85
	v_mul_f32_e32 v200, 0x3e3c28d5, v117
	v_add_f32_e32 v10, v143, v10
	v_fmac_f32_e32 v144, 0xbeb8f4ab, v34
	v_add_f32_e32 v28, v105, v28
	v_mov_b32_e32 v105, v200
	v_add_f32_e32 v10, v144, v10
	v_fmac_f32_e32 v145, 0xbf06c442, v35
	v_fmac_f32_e32 v105, 0xbf7ba420, v86
	v_mul_f32_e32 v201, 0x3f763a35, v118
	v_add_f32_e32 v10, v145, v10
	v_fmac_f32_e32 v146, 0x3f7ee86f, v45
	v_add_f32_e32 v28, v105, v28
	v_mov_b32_e32 v105, v201
	v_add_f32_e32 v10, v146, v10
	v_fmac_f32_e32 v147, 0x3f3d2fb0, v46
	;; [unrolled: 8-line block ×3, first 2 shown]
	v_fmac_f32_e32 v105, 0x3f3d2fb0, v88
	v_mul_f32_e32 v203, 0xbeb8f4ab, v120
	v_add_f32_e32 v11, v149, v10
	v_fma_f32 v10, v84, s11, -v150
	v_add_f32_e32 v28, v105, v28
	v_mov_b32_e32 v105, v203
	v_add_f32_e32 v10, v18, v10
	v_fma_f32 v12, v85, s16, -v151
	v_fmac_f32_e32 v105, 0x3f6eb680, v89
	v_mul_f32_e32 v204, 0xbf7ee86f, v122
	v_add_f32_e32 v10, v12, v10
	v_fma_f32 v12, v86, s10, -v152
	v_add_f32_e32 v28, v105, v28
	v_mov_b32_e32 v105, v204
	v_add_f32_e32 v10, v12, v10
	v_fma_f32 v12, v87, s9, -v153
	;; [unrolled: 8-line block ×3, first 2 shown]
	v_fmac_f32_e32 v105, 0xbf59a7d5, v91
	v_mul_f32_e32 v206, 0x3f3d2fb0, v107
	v_add_f32_e32 v10, v12, v10
	v_fma_f32 v12, v90, s8, -v156
	v_add_f32_e32 v28, v105, v28
	v_mov_b32_e32 v105, v206
	v_mul_f32_e32 v207, 0x3dbcf732, v108
	v_add_f32_e32 v10, v12, v10
	v_fma_f32 v12, v91, s15, -v157
	v_fmac_f32_e32 v158, 0xbf763a35, v32
	v_fmac_f32_e32 v105, 0x3f2c7751, v32
	v_mov_b32_e32 v106, v207
	v_add_f32_e32 v10, v12, v10
	v_add_f32_e32 v12, v19, v158
	v_fmac_f32_e32 v159, 0x3f06c442, v33
	v_add_f32_e32 v105, v19, v105
	v_fmac_f32_e32 v106, 0x3f7ee86f, v33
	v_mul_f32_e32 v208, 0xbf1a4643, v109
	v_add_f32_e32 v12, v159, v12
	v_fmac_f32_e32 v160, 0x3f2c7751, v34
	v_add_f32_e32 v105, v106, v105
	v_mov_b32_e32 v106, v208
	v_add_f32_e32 v12, v160, v12
	v_fmac_f32_e32 v161, 0xbf65296c, v35
	v_fmac_f32_e32 v106, 0x3f4c4adb, v34
	v_mul_f32_e32 v209, 0xbf7ba420, v110
	v_add_f32_e32 v12, v161, v12
	v_fmac_f32_e32 v162, 0xbe3c28d5, v45
	v_add_f32_e32 v105, v106, v105
	v_mov_b32_e32 v106, v209
	v_add_f32_e32 v12, v162, v12
	v_fmac_f32_e32 v163, 0x3dbcf732, v46
	;; [unrolled: 8-line block ×3, first 2 shown]
	v_fmac_f32_e32 v106, 0xbf06c442, v45
	v_mul_f32_e32 v211, 0x3f763a35, v112
	v_add_f32_e32 v13, v165, v12
	v_fma_f32 v12, v84, s16, -v166
	v_add_f32_e32 v105, v106, v105
	v_fma_f32 v106, v46, s16, -v211
	v_mul_f32_e32 v212, 0x3f65296c, v113
	v_add_f32_e32 v12, v18, v12
	v_fma_f32 v37, v85, s9, -v167
	v_add_f32_e32 v105, v106, v105
	v_fma_f32 v106, v81, s15, -v212
	;; [unrolled: 5-line block ×3, first 2 shown]
	v_mul_f32_e32 v214, 0xbf2c7751, v115
	v_add_f32_e32 v12, v37, v12
	v_fma_f32 v37, v87, s15, -v169
	v_add_f32_e32 v106, v106, v105
	v_mov_b32_e32 v105, v214
	v_mul_f32_e32 v215, 0xbf7ee86f, v116
	v_add_f32_e32 v12, v37, v12
	v_fma_f32 v37, v88, s8, -v170
	v_fmac_f32_e32 v105, 0x3f3d2fb0, v84
	v_mov_b32_e32 v216, v215
	v_add_f32_e32 v12, v37, v12
	v_fma_f32 v37, v89, s17, -v171
	v_add_f32_e32 v105, v18, v105
	v_fmac_f32_e32 v216, 0x3dbcf732, v85
	v_add_f32_e32 v12, v37, v12
	v_fma_f32 v37, v90, s10, -v172
	v_add_f32_e32 v105, v216, v105
	v_mul_f32_e32 v216, 0xbf4c4adb, v117
	v_add_f32_e32 v12, v37, v12
	v_fma_f32 v37, v91, s11, -v173
	v_fmac_f32_e32 v174, 0xbf7ee86f, v32
	v_mov_b32_e32 v217, v216
	v_add_f32_e32 v12, v37, v12
	v_add_f32_e32 v37, v19, v174
	v_fmac_f32_e32 v175, 0xbe3c28d5, v33
	v_fmac_f32_e32 v217, 0xbf1a4643, v86
	v_add_f32_e32 v37, v175, v37
	v_fmac_f32_e32 v176, 0x3f763a35, v34
	v_add_f32_e32 v105, v217, v105
	v_mul_f32_e32 v217, 0xbe3c28d5, v118
	v_add_f32_e32 v37, v176, v37
	v_fmac_f32_e32 v177, 0x3eb8f4ab, v35
	v_mov_b32_e32 v218, v217
	v_add_f32_e32 v37, v177, v37
	v_fmac_f32_e32 v178, 0xbf65296c, v45
	v_fmac_f32_e32 v218, 0xbf7ba420, v87
	v_add_f32_e32 v37, v178, v37
	v_fmac_f32_e32 v179, 0xbf59a7d5, v46
	v_add_f32_e32 v105, v218, v105
	v_mul_f32_e32 v218, 0x3f06c442, v119
	v_add_f32_e32 v37, v179, v37
	v_fmac_f32_e32 v180, 0xbf1a4643, v81
	v_mov_b32_e32 v219, v218
	v_add_f32_e32 v37, v180, v37
	v_fmac_f32_e32 v181, 0x3f3d2fb0, v83
	v_fmac_f32_e32 v219, 0xbf59a7d5, v88
	v_add_f32_e32 v38, v181, v37
	v_fma_f32 v37, v84, s17, -v182
	v_add_f32_e32 v105, v219, v105
	v_mul_f32_e32 v219, 0x3f763a35, v120
	v_add_f32_e32 v37, v18, v37
	v_fma_f32 v39, v85, s8, -v183
	v_mov_b32_e32 v220, v219
	v_add_f32_e32 v37, v39, v37
	v_fma_f32 v39, v86, s16, -v184
	v_fmac_f32_e32 v220, 0xbe8c1d8e, v89
	v_add_f32_e32 v37, v39, v37
	v_fma_f32 v39, v87, s10, -v185
	v_add_f32_e32 v105, v220, v105
	v_mul_f32_e32 v220, 0x3f65296c, v122
	v_add_f32_e32 v37, v39, v37
	v_fma_f32 v39, v88, s15, -v186
	v_mov_b32_e32 v221, v220
	v_add_f32_e32 v37, v39, v37
	v_fma_f32 v39, v89, s9, -v187
	v_fmac_f32_e32 v221, 0x3ee437d1, v90
	v_add_f32_e32 v37, v39, v37
	v_fma_f32 v39, v90, s11, -v188
	v_add_f32_e32 v105, v221, v105
	v_mul_f32_e32 v221, 0x3eb8f4ab, v124
	v_add_f32_e32 v37, v39, v37
	v_fma_f32 v39, v91, s14, -v189
	v_fmac_f32_e32 v190, 0xbf65296c, v32
	v_mov_b32_e32 v222, v221
	v_add_f32_e32 v37, v39, v37
	v_add_f32_e32 v39, v19, v190
	v_fmac_f32_e32 v191, 0xbf4c4adb, v33
	v_fmac_f32_e32 v222, 0x3f6eb680, v91
	v_add_f32_e32 v39, v191, v39
	v_fmac_f32_e32 v192, 0x3e3c28d5, v34
	v_add_f32_e32 v105, v222, v105
	v_mul_f32_e32 v222, 0x3f6eb680, v107
	v_add_f32_e32 v39, v192, v39
	v_fmac_f32_e32 v193, 0x3f763a35, v35
	v_mov_b32_e32 v107, v222
	v_mul_f32_e32 v223, 0x3f3d2fb0, v108
	v_add_f32_e32 v39, v193, v39
	v_fmac_f32_e32 v194, 0x3f2c7751, v45
	v_fmac_f32_e32 v107, 0x3eb8f4ab, v32
	v_mov_b32_e32 v108, v223
	v_add_f32_e32 v39, v194, v39
	v_fmac_f32_e32 v195, 0x3f6eb680, v46
	v_add_f32_e32 v107, v19, v107
	v_fmac_f32_e32 v108, 0x3f2c7751, v33
	v_mul_f32_e32 v109, 0x3ee437d1, v109
	v_add_f32_e32 v39, v195, v39
	v_fmac_f32_e32 v196, 0x3dbcf732, v81
	v_add_f32_e32 v107, v108, v107
	v_mov_b32_e32 v108, v109
	v_add_f32_e32 v39, v196, v39
	v_fmac_f32_e32 v197, 0xbf59a7d5, v83
	v_fmac_f32_e32 v108, 0x3f65296c, v34
	v_mul_f32_e32 v110, 0x3dbcf732, v110
	v_add_f32_e32 v40, v197, v39
	v_fma_f32 v39, v84, s15, -v198
	v_add_f32_e32 v107, v108, v107
	v_mov_b32_e32 v108, v110
	v_add_f32_e32 v39, v18, v39
	v_fma_f32 v41, v85, s11, -v199
	v_fmac_f32_e32 v108, 0x3f7ee86f, v35
	v_mul_f32_e32 v111, 0xbe8c1d8e, v111
	v_add_f32_e32 v39, v41, v39
	v_fma_f32 v41, v86, s8, -v200
	v_add_f32_e32 v107, v108, v107
	v_mov_b32_e32 v108, v111
	v_add_f32_e32 v39, v41, v39
	v_fma_f32 v41, v87, s16, -v201
	v_fmac_f32_e32 v108, 0x3f763a35, v45
	v_mul_f32_e32 v112, 0xbf4c4adb, v112
	v_add_f32_e32 v39, v41, v39
	v_fma_f32 v41, v88, s14, -v202
	v_add_f32_e32 v107, v108, v107
	v_fma_f32 v108, v46, s11, -v112
	v_mul_f32_e32 v113, 0xbf06c442, v113
	v_add_f32_e32 v39, v41, v39
	v_fma_f32 v41, v89, s10, -v203
	v_add_f32_e32 v107, v108, v107
	v_fma_f32 v108, v81, s9, -v113
	;; [unrolled: 5-line block ×3, first 2 shown]
	v_mul_f32_e32 v115, 0xbeb8f4ab, v115
	v_add_f32_e32 v39, v41, v39
	v_fma_f32 v41, v91, s9, -v205
	v_fmac_f32_e32 v206, 0xbf2c7751, v32
	v_add_f32_e32 v108, v108, v107
	v_mov_b32_e32 v107, v115
	v_mul_f32_e32 v116, 0xbf2c7751, v116
	v_add_f32_e32 v39, v41, v39
	v_add_f32_e32 v41, v19, v206
	v_fmac_f32_e32 v207, 0xbf7ee86f, v33
	v_fmac_f32_e32 v107, 0x3f6eb680, v84
	v_mov_b32_e32 v224, v116
	v_add_f32_e32 v41, v207, v41
	v_fmac_f32_e32 v208, 0xbf4c4adb, v34
	v_add_f32_e32 v107, v18, v107
	v_fmac_f32_e32 v224, 0x3f3d2fb0, v85
	v_mul_f32_e32 v117, 0xbf65296c, v117
	v_add_f32_e32 v41, v208, v41
	v_fmac_f32_e32 v209, 0xbe3c28d5, v35
	v_add_f32_e32 v107, v224, v107
	v_mov_b32_e32 v224, v117
	v_add_f32_e32 v41, v209, v41
	v_fmac_f32_e32 v210, 0x3f06c442, v45
	v_fmac_f32_e32 v224, 0x3ee437d1, v86
	v_mul_f32_e32 v118, 0xbf7ee86f, v118
	v_add_f32_e32 v41, v210, v41
	v_fmac_f32_e32 v211, 0xbe8c1d8e, v46
	v_add_f32_e32 v107, v224, v107
	v_mov_b32_e32 v224, v118
	v_add_f32_e32 v41, v211, v41
	v_fmac_f32_e32 v212, 0x3ee437d1, v81
	v_fmac_f32_e32 v224, 0x3dbcf732, v87
	v_mul_f32_e32 v119, 0xbf763a35, v119
	v_add_f32_e32 v41, v212, v41
	v_fmac_f32_e32 v213, 0x3f6eb680, v83
	v_add_f32_e32 v107, v224, v107
	v_mov_b32_e32 v224, v119
	v_add_f32_e32 v42, v213, v41
	v_fma_f32 v41, v84, s14, -v214
	v_fmac_f32_e32 v222, 0xbeb8f4ab, v32
	v_fma_f32 v32, v84, s10, -v115
	v_fmac_f32_e32 v224, 0xbe8c1d8e, v88
	v_mul_f32_e32 v120, 0xbf4c4adb, v120
	v_add_f32_e32 v41, v18, v41
	v_add_f32_e32 v18, v18, v32
	v_fma_f32 v32, v85, s14, -v116
	v_add_f32_e32 v107, v224, v107
	v_mov_b32_e32 v224, v120
	v_fma_f32 v43, v85, s17, -v215
	v_add_f32_e32 v19, v19, v222
	v_fmac_f32_e32 v223, 0xbf2c7751, v33
	v_add_f32_e32 v18, v32, v18
	v_fma_f32 v32, v86, s15, -v117
	v_fmac_f32_e32 v224, 0xbf1a4643, v89
	v_mul_f32_e32 v122, 0xbf06c442, v122
	v_add_f32_e32 v41, v43, v41
	v_fma_f32 v43, v86, s11, -v216
	v_add_f32_e32 v19, v223, v19
	v_fmac_f32_e32 v109, 0xbf65296c, v34
	v_add_f32_e32 v18, v32, v18
	v_fma_f32 v32, v87, s17, -v118
	v_add_f32_e32 v107, v224, v107
	v_mov_b32_e32 v224, v122
	v_add_f32_e32 v41, v43, v41
	v_fma_f32 v43, v87, s8, -v217
	v_add_f32_e32 v19, v109, v19
	v_fmac_f32_e32 v110, 0xbf7ee86f, v35
	v_add_f32_e32 v18, v32, v18
	v_fma_f32 v32, v88, s16, -v119
	v_fmac_f32_e32 v224, 0xbf59a7d5, v90
	v_mul_f32_e32 v124, 0xbe3c28d5, v124
	v_add_f32_e32 v41, v43, v41
	v_fma_f32 v43, v88, s9, -v218
	v_add_f32_e32 v19, v110, v19
	v_fmac_f32_e32 v111, 0xbf763a35, v45
	v_add_f32_e32 v18, v32, v18
	v_fma_f32 v32, v89, s11, -v120
	v_add_f32_e32 v107, v224, v107
	v_mov_b32_e32 v224, v124
	v_add_f32_e32 v41, v43, v41
	v_fma_f32 v43, v89, s16, -v219
	v_add_f32_e32 v19, v111, v19
	v_fmac_f32_e32 v112, 0xbf1a4643, v46
	v_add_f32_e32 v18, v32, v18
	v_fma_f32 v32, v90, s9, -v122
	v_fmac_f32_e32 v224, 0xbf7ba420, v91
	v_add_f32_e32 v41, v43, v41
	v_fma_f32 v43, v90, s15, -v220
	v_add_f32_e32 v19, v112, v19
	v_fmac_f32_e32 v113, 0xbf59a7d5, v81
	v_add_f32_e32 v18, v32, v18
	v_fma_f32 v32, v91, s8, -v124
	v_add_f32_e32 v107, v224, v107
	v_add_f32_e32 v41, v43, v41
	v_fma_f32 v43, v91, s10, -v221
	v_add_f32_e32 v19, v113, v19
	v_fmac_f32_e32 v114, 0xbf7ba420, v83
	v_add_f32_e32 v18, v32, v18
	v_lshl_add_u32 v32, v82, 3, v80
	v_add_f32_e32 v41, v43, v41
	v_add_f32_e32 v19, v114, v19
	ds_write2_b64 v32, v[0:1], v[107:108] offset1:1
	ds_write2_b64 v32, v[105:106], v[28:29] offset0:2 offset1:3
	ds_write2_b64 v32, v[26:27], v[24:25] offset0:4 offset1:5
	;; [unrolled: 1-line block ×7, first 2 shown]
	ds_write_b64 v32, v[18:19] offset:128
.LBB0_13:
	s_or_b64 exec, exec, s[4:5]
	s_waitcnt lgkmcnt(0)
	s_barrier
	ds_read2_b64 v[0:3], v31 offset1:17
	ds_read2_b64 v[8:11], v31 offset0:34 offset1:51
	s_waitcnt lgkmcnt(1)
	v_mul_f32_e32 v12, v5, v3
	v_fmac_f32_e32 v12, v4, v2
	v_mul_f32_e32 v2, v5, v2
	v_fma_f32 v2, v4, v3, -v2
	s_waitcnt lgkmcnt(0)
	v_mul_f32_e32 v3, v7, v9
	v_mul_f32_e32 v4, v7, v8
	v_fmac_f32_e32 v3, v6, v8
	v_fma_f32 v4, v6, v9, -v4
	v_mul_f32_e32 v5, v17, v11
	v_mul_f32_e32 v6, v17, v10
	v_fmac_f32_e32 v5, v16, v10
	v_fma_f32 v6, v16, v11, -v6
	v_sub_f32_e32 v7, v0, v3
	v_sub_f32_e32 v8, v1, v4
	;; [unrolled: 1-line block ×4, first 2 shown]
	v_fma_f32 v3, v0, 2.0, -v7
	v_fma_f32 v4, v1, 2.0, -v8
	;; [unrolled: 1-line block ×4, first 2 shown]
	v_sub_f32_e32 v0, v3, v0
	v_sub_f32_e32 v1, v4, v1
	v_fma_f32 v2, v3, 2.0, -v0
	v_fma_f32 v3, v4, 2.0, -v1
	v_add_f32_e32 v4, v7, v6
	v_sub_f32_e32 v5, v8, v5
	v_fma_f32 v6, v7, 2.0, -v4
	v_fma_f32 v7, v8, 2.0, -v5
	ds_write2_b64 v30, v[2:3], v[6:7] offset1:17
	ds_write2_b64 v30, v[0:1], v[4:5] offset0:34 offset1:51
	s_waitcnt lgkmcnt(0)
	s_barrier
	s_and_b64 exec, exec, vcc
	s_cbranch_execz .LBB0_15
; %bb.14:
	global_load_dwordx2 v[0:1], v62, s[6:7]
	ds_read_b64 v[4:5], v79
	v_mad_u64_u32 v[2:3], s[4:5], s2, v36, 0
	v_mad_u64_u32 v[6:7], s[4:5], s0, v78, 0
	s_waitcnt lgkmcnt(0)
	v_mad_u64_u32 v[8:9], s[2:3], s3, v36, v[3:4]
	s_mov_b32 s4, 0x1e1e1e1e
	s_mov_b32 s5, 0x3f8e1e1e
	v_mad_u64_u32 v[9:10], s[2:3], s1, v78, v[7:8]
	v_mov_b32_e32 v11, s13
	v_mov_b32_e32 v7, v9
	s_waitcnt vmcnt(0)
	v_mul_f32_e32 v3, v5, v1
	v_mul_f32_e32 v1, v4, v1
	v_fmac_f32_e32 v3, v4, v0
	v_fma_f32 v4, v0, v5, -v1
	v_cvt_f64_f32_e32 v[0:1], v3
	v_cvt_f64_f32_e32 v[4:5], v4
	v_mov_b32_e32 v3, v8
	v_mul_f64 v[8:9], v[0:1], s[4:5]
	v_mul_f64 v[4:5], v[4:5], s[4:5]
	v_lshlrev_b64 v[0:1], 3, v[2:3]
	v_lshlrev_b64 v[2:3], 3, v[6:7]
	v_add_co_u32_e32 v0, vcc, s12, v0
	v_addc_co_u32_e32 v1, vcc, v11, v1, vcc
	v_cvt_f32_f64_e32 v6, v[8:9]
	v_cvt_f32_f64_e32 v7, v[4:5]
	v_add_co_u32_e32 v2, vcc, v0, v2
	v_addc_co_u32_e32 v3, vcc, v1, v3, vcc
	global_store_dwordx2 v[2:3], v[6:7], off
	global_load_dwordx2 v[6:7], v62, s[6:7] offset:32
	ds_read2_b64 v[2:5], v30 offset0:4 offset1:8
	v_mad_u64_u32 v[8:9], s[2:3], s0, v77, 0
	s_waitcnt vmcnt(0) lgkmcnt(0)
	v_mul_f32_e32 v10, v3, v7
	v_mul_f32_e32 v7, v2, v7
	v_fmac_f32_e32 v10, v2, v6
	v_fma_f32 v6, v6, v3, -v7
	v_cvt_f64_f32_e32 v[2:3], v10
	v_cvt_f64_f32_e32 v[6:7], v6
	v_mad_u64_u32 v[9:10], s[2:3], s1, v77, v[9:10]
	v_mul_f64 v[2:3], v[2:3], s[4:5]
	v_mul_f64 v[6:7], v[6:7], s[4:5]
	v_lshlrev_b64 v[8:9], 3, v[8:9]
	v_cvt_f32_f64_e32 v2, v[2:3]
	v_cvt_f32_f64_e32 v3, v[6:7]
	v_add_co_u32_e32 v6, vcc, v0, v8
	v_addc_co_u32_e32 v7, vcc, v1, v9, vcc
	global_store_dwordx2 v[6:7], v[2:3], off
	global_load_dwordx2 v[2:3], v62, s[6:7] offset:64
	v_mad_u64_u32 v[6:7], s[2:3], s0, v76, 0
	s_waitcnt vmcnt(0)
	v_mul_f32_e32 v8, v5, v3
	v_mul_f32_e32 v3, v4, v3
	v_fmac_f32_e32 v8, v4, v2
	v_fma_f32 v4, v2, v5, -v3
	v_cvt_f64_f32_e32 v[2:3], v8
	v_cvt_f64_f32_e32 v[4:5], v4
	v_mad_u64_u32 v[7:8], s[2:3], s1, v76, v[7:8]
	v_mul_f64 v[2:3], v[2:3], s[4:5]
	v_mul_f64 v[4:5], v[4:5], s[4:5]
	v_lshlrev_b64 v[6:7], 3, v[6:7]
	v_mad_u64_u32 v[8:9], s[2:3], s0, v75, 0
	v_cvt_f32_f64_e32 v2, v[2:3]
	v_cvt_f32_f64_e32 v3, v[4:5]
	v_add_co_u32_e32 v4, vcc, v0, v6
	v_addc_co_u32_e32 v5, vcc, v1, v7, vcc
	global_store_dwordx2 v[4:5], v[2:3], off
	global_load_dwordx2 v[6:7], v62, s[6:7] offset:96
	ds_read2_b64 v[2:5], v30 offset0:12 offset1:16
	s_waitcnt vmcnt(0) lgkmcnt(0)
	v_mul_f32_e32 v10, v3, v7
	v_mul_f32_e32 v7, v2, v7
	v_fmac_f32_e32 v10, v2, v6
	v_fma_f32 v6, v6, v3, -v7
	v_cvt_f64_f32_e32 v[2:3], v10
	v_cvt_f64_f32_e32 v[6:7], v6
	v_mad_u64_u32 v[9:10], s[2:3], s1, v75, v[9:10]
	v_mul_f64 v[2:3], v[2:3], s[4:5]
	v_mul_f64 v[6:7], v[6:7], s[4:5]
	v_lshlrev_b64 v[8:9], 3, v[8:9]
	v_cvt_f32_f64_e32 v2, v[2:3]
	v_cvt_f32_f64_e32 v3, v[6:7]
	v_add_co_u32_e32 v6, vcc, v0, v8
	v_addc_co_u32_e32 v7, vcc, v1, v9, vcc
	global_store_dwordx2 v[6:7], v[2:3], off
	global_load_dwordx2 v[2:3], v62, s[6:7] offset:128
	v_mad_u64_u32 v[6:7], s[2:3], s0, v74, 0
	s_waitcnt vmcnt(0)
	v_mul_f32_e32 v8, v5, v3
	v_mul_f32_e32 v3, v4, v3
	v_fmac_f32_e32 v8, v4, v2
	v_fma_f32 v4, v2, v5, -v3
	v_cvt_f64_f32_e32 v[2:3], v8
	v_cvt_f64_f32_e32 v[4:5], v4
	v_mad_u64_u32 v[7:8], s[2:3], s1, v74, v[7:8]
	v_mul_f64 v[2:3], v[2:3], s[4:5]
	v_mul_f64 v[4:5], v[4:5], s[4:5]
	v_lshlrev_b64 v[6:7], 3, v[6:7]
	v_mad_u64_u32 v[8:9], s[2:3], s0, v73, 0
	v_cvt_f32_f64_e32 v2, v[2:3]
	v_cvt_f32_f64_e32 v3, v[4:5]
	v_add_co_u32_e32 v4, vcc, v0, v6
	v_addc_co_u32_e32 v5, vcc, v1, v7, vcc
	global_store_dwordx2 v[4:5], v[2:3], off
	global_load_dwordx2 v[6:7], v62, s[6:7] offset:160
	ds_read2_b64 v[2:5], v30 offset0:20 offset1:24
	;; [unrolled: 37-line block ×7, first 2 shown]
	s_waitcnt vmcnt(0) lgkmcnt(0)
	v_mul_f32_e32 v10, v3, v7
	v_mul_f32_e32 v7, v2, v7
	v_fmac_f32_e32 v10, v2, v6
	v_fma_f32 v6, v6, v3, -v7
	v_cvt_f64_f32_e32 v[2:3], v10
	v_cvt_f64_f32_e32 v[6:7], v6
	v_mad_u64_u32 v[9:10], s[2:3], s1, v63, v[9:10]
	v_mul_f64 v[2:3], v[2:3], s[4:5]
	v_mul_f64 v[6:7], v[6:7], s[4:5]
	v_lshlrev_b64 v[8:9], 3, v[8:9]
	v_cvt_f32_f64_e32 v2, v[2:3]
	v_cvt_f32_f64_e32 v3, v[6:7]
	v_add_co_u32_e32 v6, vcc, v0, v8
	v_addc_co_u32_e32 v7, vcc, v1, v9, vcc
	global_store_dwordx2 v[6:7], v[2:3], off
	global_load_dwordx2 v[2:3], v62, s[6:7] offset:512
	v_mad_u64_u32 v[6:7], s[2:3], s0, v61, 0
	s_waitcnt vmcnt(0)
	v_mul_f32_e32 v8, v5, v3
	v_mul_f32_e32 v3, v4, v3
	v_fmac_f32_e32 v8, v4, v2
	v_fma_f32 v4, v2, v5, -v3
	v_cvt_f64_f32_e32 v[2:3], v8
	v_cvt_f64_f32_e32 v[4:5], v4
	v_mad_u64_u32 v[7:8], s[0:1], s1, v61, v[7:8]
	v_mul_f64 v[2:3], v[2:3], s[4:5]
	v_mul_f64 v[4:5], v[4:5], s[4:5]
	v_lshlrev_b64 v[6:7], 3, v[6:7]
	v_add_co_u32_e32 v0, vcc, v0, v6
	v_addc_co_u32_e32 v1, vcc, v1, v7, vcc
	v_cvt_f32_f64_e32 v2, v[2:3]
	v_cvt_f32_f64_e32 v3, v[4:5]
	global_store_dwordx2 v[0:1], v[2:3], off
.LBB0_15:
	s_endpgm
	.section	.rodata,"a",@progbits
	.p2align	6, 0x0
	.amdhsa_kernel bluestein_single_back_len68_dim1_sp_op_CI_CI
		.amdhsa_group_segment_fixed_size 8160
		.amdhsa_private_segment_fixed_size 0
		.amdhsa_kernarg_size 104
		.amdhsa_user_sgpr_count 6
		.amdhsa_user_sgpr_private_segment_buffer 1
		.amdhsa_user_sgpr_dispatch_ptr 0
		.amdhsa_user_sgpr_queue_ptr 0
		.amdhsa_user_sgpr_kernarg_segment_ptr 1
		.amdhsa_user_sgpr_dispatch_id 0
		.amdhsa_user_sgpr_flat_scratch_init 0
		.amdhsa_user_sgpr_private_segment_size 0
		.amdhsa_uses_dynamic_stack 0
		.amdhsa_system_sgpr_private_segment_wavefront_offset 0
		.amdhsa_system_sgpr_workgroup_id_x 1
		.amdhsa_system_sgpr_workgroup_id_y 0
		.amdhsa_system_sgpr_workgroup_id_z 0
		.amdhsa_system_sgpr_workgroup_info 0
		.amdhsa_system_vgpr_workitem_id 0
		.amdhsa_next_free_vgpr 225
		.amdhsa_next_free_sgpr 18
		.amdhsa_reserve_vcc 1
		.amdhsa_reserve_flat_scratch 0
		.amdhsa_float_round_mode_32 0
		.amdhsa_float_round_mode_16_64 0
		.amdhsa_float_denorm_mode_32 3
		.amdhsa_float_denorm_mode_16_64 3
		.amdhsa_dx10_clamp 1
		.amdhsa_ieee_mode 1
		.amdhsa_fp16_overflow 0
		.amdhsa_exception_fp_ieee_invalid_op 0
		.amdhsa_exception_fp_denorm_src 0
		.amdhsa_exception_fp_ieee_div_zero 0
		.amdhsa_exception_fp_ieee_overflow 0
		.amdhsa_exception_fp_ieee_underflow 0
		.amdhsa_exception_fp_ieee_inexact 0
		.amdhsa_exception_int_div_zero 0
	.end_amdhsa_kernel
	.text
.Lfunc_end0:
	.size	bluestein_single_back_len68_dim1_sp_op_CI_CI, .Lfunc_end0-bluestein_single_back_len68_dim1_sp_op_CI_CI
                                        ; -- End function
	.section	.AMDGPU.csdata,"",@progbits
; Kernel info:
; codeLenInByte = 15180
; NumSgprs: 22
; NumVgprs: 225
; ScratchSize: 0
; MemoryBound: 0
; FloatMode: 240
; IeeeMode: 1
; LDSByteSize: 8160 bytes/workgroup (compile time only)
; SGPRBlocks: 2
; VGPRBlocks: 56
; NumSGPRsForWavesPerEU: 22
; NumVGPRsForWavesPerEU: 225
; Occupancy: 1
; WaveLimiterHint : 1
; COMPUTE_PGM_RSRC2:SCRATCH_EN: 0
; COMPUTE_PGM_RSRC2:USER_SGPR: 6
; COMPUTE_PGM_RSRC2:TRAP_HANDLER: 0
; COMPUTE_PGM_RSRC2:TGID_X_EN: 1
; COMPUTE_PGM_RSRC2:TGID_Y_EN: 0
; COMPUTE_PGM_RSRC2:TGID_Z_EN: 0
; COMPUTE_PGM_RSRC2:TIDIG_COMP_CNT: 0
	.type	__hip_cuid_e519eff78380c24a,@object ; @__hip_cuid_e519eff78380c24a
	.section	.bss,"aw",@nobits
	.globl	__hip_cuid_e519eff78380c24a
__hip_cuid_e519eff78380c24a:
	.byte	0                               ; 0x0
	.size	__hip_cuid_e519eff78380c24a, 1

	.ident	"AMD clang version 19.0.0git (https://github.com/RadeonOpenCompute/llvm-project roc-6.4.0 25133 c7fe45cf4b819c5991fe208aaa96edf142730f1d)"
	.section	".note.GNU-stack","",@progbits
	.addrsig
	.addrsig_sym __hip_cuid_e519eff78380c24a
	.amdgpu_metadata
---
amdhsa.kernels:
  - .args:
      - .actual_access:  read_only
        .address_space:  global
        .offset:         0
        .size:           8
        .value_kind:     global_buffer
      - .actual_access:  read_only
        .address_space:  global
        .offset:         8
        .size:           8
        .value_kind:     global_buffer
      - .actual_access:  read_only
        .address_space:  global
        .offset:         16
        .size:           8
        .value_kind:     global_buffer
      - .actual_access:  read_only
        .address_space:  global
        .offset:         24
        .size:           8
        .value_kind:     global_buffer
      - .actual_access:  read_only
        .address_space:  global
        .offset:         32
        .size:           8
        .value_kind:     global_buffer
      - .offset:         40
        .size:           8
        .value_kind:     by_value
      - .address_space:  global
        .offset:         48
        .size:           8
        .value_kind:     global_buffer
      - .address_space:  global
        .offset:         56
        .size:           8
        .value_kind:     global_buffer
      - .address_space:  global
        .offset:         64
        .size:           8
        .value_kind:     global_buffer
      - .address_space:  global
        .offset:         72
        .size:           8
        .value_kind:     global_buffer
      - .offset:         80
        .size:           4
        .value_kind:     by_value
      - .address_space:  global
        .offset:         88
        .size:           8
        .value_kind:     global_buffer
      - .address_space:  global
        .offset:         96
        .size:           8
        .value_kind:     global_buffer
    .group_segment_fixed_size: 8160
    .kernarg_segment_align: 8
    .kernarg_segment_size: 104
    .language:       OpenCL C
    .language_version:
      - 2
      - 0
    .max_flat_workgroup_size: 255
    .name:           bluestein_single_back_len68_dim1_sp_op_CI_CI
    .private_segment_fixed_size: 0
    .sgpr_count:     22
    .sgpr_spill_count: 0
    .symbol:         bluestein_single_back_len68_dim1_sp_op_CI_CI.kd
    .uniform_work_group_size: 1
    .uses_dynamic_stack: false
    .vgpr_count:     225
    .vgpr_spill_count: 0
    .wavefront_size: 64
amdhsa.target:   amdgcn-amd-amdhsa--gfx906
amdhsa.version:
  - 1
  - 2
...

	.end_amdgpu_metadata
